;; amdgpu-corpus repo=ROCm/rocFFT kind=compiled arch=gfx1030 opt=O3
	.text
	.amdgcn_target "amdgcn-amd-amdhsa--gfx1030"
	.amdhsa_code_object_version 6
	.protected	bluestein_single_fwd_len924_dim1_sp_op_CI_CI ; -- Begin function bluestein_single_fwd_len924_dim1_sp_op_CI_CI
	.globl	bluestein_single_fwd_len924_dim1_sp_op_CI_CI
	.p2align	8
	.type	bluestein_single_fwd_len924_dim1_sp_op_CI_CI,@function
bluestein_single_fwd_len924_dim1_sp_op_CI_CI: ; @bluestein_single_fwd_len924_dim1_sp_op_CI_CI
; %bb.0:
	s_load_dwordx4 s[8:11], s[4:5], 0x28
	v_mul_u32_u24_e32 v1, 0x5d2, v0
	v_mov_b32_e32 v147, 0
	s_mov_b32 s0, exec_lo
	v_lshrrev_b32_e32 v1, 16, v1
	v_add_nc_u32_e32 v146, s6, v1
	s_waitcnt lgkmcnt(0)
	v_cmpx_gt_u64_e64 s[8:9], v[146:147]
	s_cbranch_execz .LBB0_31
; %bb.1:
	s_clause 0x1
	s_load_dwordx4 s[0:3], s[4:5], 0x18
	s_load_dwordx2 s[6:7], s[4:5], 0x0
	v_mul_lo_u16 v1, v1, 44
	v_sub_nc_u16 v50, v0, v1
	v_and_b32_e32 v176, 0xffff, v50
	v_lshlrev_b32_e32 v175, 3, v176
	s_waitcnt lgkmcnt(0)
	s_load_dwordx4 s[12:15], s[0:1], 0x0
	s_clause 0x5
	global_load_dwordx2 v[153:154], v175, s[6:7]
	global_load_dwordx2 v[155:156], v175, s[6:7] offset:352
	global_load_dwordx2 v[157:158], v175, s[6:7] offset:704
	;; [unrolled: 1-line block ×5, first 2 shown]
	v_add_co_u32 v100, s0, s6, v175
	v_add_co_ci_u32_e64 v101, null, s7, 0, s0
	v_add_co_u32 v124, vcc_lo, 0x800, v100
	v_add_co_ci_u32_e32 v125, vcc_lo, 0, v101, vcc_lo
	v_add_co_u32 v2, vcc_lo, 0x1000, v100
	v_add_co_ci_u32_e32 v3, vcc_lo, 0, v101, vcc_lo
	s_clause 0x4
	global_load_dwordx2 v[163:164], v[2:3], off offset:304
	global_load_dwordx2 v[161:162], v[2:3], off offset:656
	;; [unrolled: 1-line block ×5, first 2 shown]
	s_waitcnt lgkmcnt(0)
	v_mad_u64_u32 v[0:1], null, s14, v146, 0
	v_mad_u64_u32 v[4:5], null, s12, v176, 0
	v_add_co_u32 v126, vcc_lo, 0x1800, v100
	v_add_co_ci_u32_e32 v127, vcc_lo, 0, v101, vcc_lo
	v_mad_u64_u32 v[1:2], null, s15, v146, v[1:2]
	v_mad_u64_u32 v[2:3], null, s13, v176, v[5:6]
	s_mul_i32 s1, s13, 0x1ce
	s_mul_hi_u32 s7, s12, 0x1ce
	s_mul_i32 s0, s12, 0x1ce
	s_mul_hi_u32 s9, s12, 0xfffffe5e
	v_lshlrev_b64 v[0:1], 3, v[0:1]
	s_add_i32 s1, s7, s1
	v_mov_b32_e32 v5, v2
	s_mul_i32 s8, s13, 0xfffffe5e
	s_mul_i32 s6, s12, 0xfffffe5e
	s_sub_i32 s7, s9, s12
	v_add_co_u32 v0, vcc_lo, s10, v0
	v_lshlrev_b64 v[2:3], 3, v[4:5]
	v_add_co_ci_u32_e32 v1, vcc_lo, s11, v1, vcc_lo
	s_lshl_b64 s[12:13], s[0:1], 3
	s_add_i32 s7, s7, s8
	s_clause 0x2
	global_load_dwordx2 v[144:145], v[124:125], off offset:64
	global_load_dwordx2 v[130:131], v[124:125], off offset:416
	;; [unrolled: 1-line block ×3, first 2 shown]
	v_add_co_u32 v0, vcc_lo, v0, v2
	v_add_co_ci_u32_e32 v1, vcc_lo, v1, v3, vcc_lo
	s_lshl_b64 s[0:1], s[6:7], 3
	v_add_co_u32 v2, vcc_lo, v0, s12
	v_add_co_ci_u32_e32 v3, vcc_lo, s13, v1, vcc_lo
	s_clause 0x3
	global_load_dwordx2 v[167:168], v[124:125], off offset:1648
	global_load_dwordx2 v[165:166], v[124:125], off offset:2000
	;; [unrolled: 1-line block ×4, first 2 shown]
	v_add_co_u32 v4, vcc_lo, v2, s0
	v_add_co_ci_u32_e32 v5, vcc_lo, s1, v3, vcc_lo
	global_load_dwordx2 v[8:9], v[0:1], off
	v_add_co_u32 v6, vcc_lo, v4, s12
	v_add_co_ci_u32_e32 v7, vcc_lo, s13, v5, vcc_lo
	v_add_co_u32 v0, vcc_lo, v6, s0
	v_add_co_ci_u32_e32 v1, vcc_lo, s1, v7, vcc_lo
	s_clause 0x2
	global_load_dwordx2 v[10:11], v[2:3], off
	global_load_dwordx2 v[4:5], v[4:5], off
	global_load_dwordx2 v[6:7], v[6:7], off
	v_add_co_u32 v2, vcc_lo, v0, s12
	v_add_co_ci_u32_e32 v3, vcc_lo, s13, v1, vcc_lo
	global_load_dwordx2 v[12:13], v[0:1], off
	v_add_co_u32 v0, vcc_lo, v2, s0
	v_add_co_ci_u32_e32 v1, vcc_lo, s1, v3, vcc_lo
	global_load_dwordx2 v[16:17], v[2:3], off
	;; [unrolled: 3-line block ×14, first 2 shown]
	v_add_co_u32 v0, vcc_lo, v14, s12
	v_add_co_ci_u32_e32 v1, vcc_lo, s13, v15, vcc_lo
	global_load_dwordx2 v[136:137], v[124:125], off offset:1120
	global_load_dwordx2 v[42:43], v[14:15], off
	global_load_dwordx2 v[138:139], v[126:127], off offset:720
	global_load_dwordx2 v[44:45], v[0:1], off
	s_load_dwordx2 s[6:7], s[4:5], 0x38
	s_load_dwordx4 s[8:11], s[2:3], 0x0
	v_add_nc_u32_e32 v14, 0xc00, v175
	v_add_nc_u32_e32 v3, 0x1000, v175
	;; [unrolled: 1-line block ×3, first 2 shown]
	v_cmp_gt_u16_e32 vcc_lo, 22, v50
	s_waitcnt vmcnt(21)
	v_mul_f32_e32 v46, v9, v154
	v_mul_f32_e32 v15, v8, v154
	v_fmac_f32_e32 v46, v8, v153
	v_fma_f32 v47, v9, v153, -v15
	v_add_nc_u32_e32 v15, 0x1800, v175
	s_waitcnt vmcnt(20)
	v_mul_f32_e32 v8, v11, v168
	v_mul_f32_e32 v49, v10, v168
	s_waitcnt vmcnt(19)
	v_mul_f32_e32 v48, v5, v156
	v_mul_f32_e32 v51, v4, v156
	v_fmac_f32_e32 v8, v10, v167
	v_fma_f32 v9, v11, v167, -v49
	v_fmac_f32_e32 v48, v4, v155
	s_waitcnt vmcnt(18)
	v_mul_f32_e32 v4, v7, v166
	v_fma_f32 v49, v5, v155, -v51
	v_mul_f32_e32 v5, v6, v166
	ds_write_b64 v175, v[8:9] offset:3696
	s_waitcnt vmcnt(16)
	v_mul_f32_e32 v9, v16, v164
	v_fmac_f32_e32 v4, v6, v165
	v_mul_f32_e32 v6, v17, v164
	v_mul_f32_e32 v10, v12, v158
	v_fma_f32 v5, v7, v165, -v5
	v_fma_f32 v7, v17, v163, -v9
	v_mul_f32_e32 v8, v13, v158
	v_fmac_f32_e32 v6, v16, v163
	ds_write2_b64 v175, v[46:47], v[48:49] offset1:44
	v_fma_f32 v9, v13, v157, -v10
	s_waitcnt vmcnt(15)
	v_mul_f32_e32 v10, v19, v150
	v_mul_f32_e32 v11, v18, v150
	ds_write2_b64 v14, v[4:5], v[6:7] offset0:122 offset1:166
	v_fmac_f32_e32 v8, v12, v157
	s_waitcnt vmcnt(14)
	v_mul_f32_e32 v4, v21, v162
	s_waitcnt vmcnt(13)
	v_mul_f32_e32 v6, v23, v148
	v_mul_f32_e32 v7, v22, v148
	;; [unrolled: 1-line block ×3, first 2 shown]
	v_fmac_f32_e32 v10, v18, v149
	v_fma_f32 v11, v19, v149, -v11
	s_waitcnt vmcnt(12)
	v_mul_f32_e32 v12, v25, v160
	v_mul_f32_e32 v13, v24, v160
	v_fmac_f32_e32 v6, v22, v147
	v_fma_f32 v7, v23, v147, -v7
	v_fmac_f32_e32 v4, v20, v161
	s_waitcnt vmcnt(11)
	v_mul_f32_e32 v16, v27, v141
	v_mul_f32_e32 v14, v26, v141
	v_fma_f32 v5, v21, v161, -v5
	v_fmac_f32_e32 v12, v24, v159
	v_fma_f32 v13, v25, v159, -v13
	v_fmac_f32_e32 v16, v26, v140
	v_fma_f32 v17, v27, v140, -v14
	s_waitcnt vmcnt(10)
	v_mul_f32_e32 v18, v29, v152
	ds_write2_b64 v175, v[8:9], v[10:11] offset0:88 offset1:132
	ds_write2_b64 v3, v[4:5], v[12:13] offset0:82 offset1:126
	v_mul_f32_e32 v5, v28, v152
	s_waitcnt vmcnt(9)
	v_mul_f32_e32 v9, v30, v145
	ds_write2_b64 v175, v[6:7], v[16:17] offset0:176 offset1:220
	v_fmac_f32_e32 v18, v28, v151
	v_mul_f32_e32 v6, v31, v145
	v_fma_f32 v19, v29, v151, -v5
	s_waitcnt vmcnt(8)
	v_mul_f32_e32 v4, v33, v143
	v_mul_f32_e32 v7, v32, v143
	v_fmac_f32_e32 v6, v30, v144
	v_fmac_f32_e32 v4, v32, v142
	v_fma_f32 v5, v33, v142, -v7
	s_waitcnt vmcnt(7)
	v_mul_f32_e32 v10, v34, v131
	v_mul_f32_e32 v8, v35, v131
	v_fma_f32 v7, v31, v144, -v9
	ds_write2_b64 v3, v[18:19], v[4:5] offset0:170 offset1:214
	s_waitcnt vmcnt(6)
	v_mul_f32_e32 v4, v37, v135
	v_mul_f32_e32 v5, v36, v135
	v_fma_f32 v9, v35, v130, -v10
	s_waitcnt vmcnt(5)
	v_mul_f32_e32 v10, v39, v133
	v_mul_f32_e32 v11, v38, v133
	v_fmac_f32_e32 v8, v34, v130
	v_fmac_f32_e32 v4, v36, v134
	v_fma_f32 v5, v37, v134, -v5
	s_waitcnt vmcnt(4)
	v_mul_f32_e32 v12, v41, v129
	v_mul_f32_e32 v13, v40, v129
	v_fmac_f32_e32 v10, v38, v132
	s_waitcnt vmcnt(2)
	v_mul_f32_e32 v16, v43, v137
	v_mul_f32_e32 v14, v42, v137
	s_waitcnt vmcnt(0)
	v_mul_f32_e32 v18, v45, v139
	v_mul_f32_e32 v19, v44, v139
	v_fmac_f32_e32 v12, v40, v128
	v_fma_f32 v13, v41, v128, -v13
	v_fma_f32 v11, v39, v132, -v11
	v_fmac_f32_e32 v16, v42, v136
	v_fma_f32 v17, v43, v136, -v14
	v_fmac_f32_e32 v18, v44, v138
	v_fma_f32 v19, v45, v138, -v19
	ds_write2_b64 v2, v[6:7], v[8:9] offset0:8 offset1:52
	ds_write2_b64 v15, v[4:5], v[12:13] offset0:2 offset1:46
	;; [unrolled: 1-line block ×3, first 2 shown]
	ds_write_b64 v175, v[18:19] offset:6864
	s_and_saveexec_b32 s2, vcc_lo
	s_cbranch_execz .LBB0_3
; %bb.2:
	v_add_co_u32 v0, s0, v0, s0
	v_add_co_ci_u32_e64 v1, s0, s1, v1, s0
	v_add_co_u32 v4, s0, v0, s12
	v_add_co_ci_u32_e64 v5, s0, s13, v1, s0
	global_load_dwordx2 v[0:1], v[0:1], off
	s_clause 0x1
	global_load_dwordx2 v[6:7], v[124:125], off offset:1472
	global_load_dwordx2 v[8:9], v[126:127], off offset:1072
	global_load_dwordx2 v[4:5], v[4:5], off
	s_waitcnt vmcnt(2)
	v_mul_f32_e32 v10, v1, v7
	v_mul_f32_e32 v11, v0, v7
	s_waitcnt vmcnt(0)
	v_mul_f32_e32 v7, v5, v9
	v_mul_f32_e32 v9, v4, v9
	v_fmac_f32_e32 v10, v0, v6
	v_fma_f32 v11, v1, v6, -v11
	v_fmac_f32_e32 v7, v4, v8
	v_fma_f32 v8, v5, v8, -v9
	ds_write_b64 v175, v[10:11] offset:3520
	ds_write_b64 v175, v[7:8] offset:7216
.LBB0_3:
	s_or_b32 exec_lo, exec_lo, s2
	v_add_nc_u32_e32 v0, 0x1400, v175
	s_waitcnt lgkmcnt(0)
	s_barrier
	buffer_gl0_inv
	ds_read2_b64 v[19:22], v175 offset1:44
	ds_read2_b64 v[31:34], v2 offset0:206 offset1:250
	ds_read2_b64 v[7:10], v175 offset0:88 offset1:132
	;; [unrolled: 1-line block ×9, first 2 shown]
                                        ; implicit-def: $vgpr43
                                        ; implicit-def: $vgpr0
	s_and_saveexec_b32 s0, vcc_lo
	s_cbranch_execz .LBB0_5
; %bb.4:
	ds_read_b64 v[0:1], v175 offset:3520
	ds_read_b64 v[43:44], v175 offset:7216
.LBB0_5:
	s_or_b32 exec_lo, exec_lo, s0
	s_load_dwordx2 s[2:3], s[4:5], 0x8
	s_waitcnt lgkmcnt(0)
	v_sub_f32_e32 v33, v21, v33
	v_sub_f32_e32 v34, v22, v34
	v_add_co_u32 v78, s0, v176, 44
	v_add_co_ci_u32_e64 v2, null, 0, 0, s0
	v_add_co_u32 v45, s0, 0x58, v176
	v_sub_f32_e32 v54, v19, v31
	v_sub_f32_e32 v55, v20, v32
	;; [unrolled: 1-line block ×4, first 2 shown]
	v_fma_f32 v31, v21, 2.0, -v33
	v_sub_f32_e32 v21, v9, v41
	v_fma_f32 v32, v22, 2.0, -v34
	v_sub_f32_e32 v22, v10, v42
	v_sub_f32_e32 v39, v27, v35
	;; [unrolled: 1-line block ×5, first 2 shown]
	v_add_co_ci_u32_e64 v2, null, 0, 0, s0
	v_add_co_u32 v49, null, 0x84, v176
	v_add_co_u32 v48, null, 0xb0, v176
	;; [unrolled: 1-line block ×4, first 2 shown]
	v_lshlrev_b32_e32 v50, 1, v176
	v_add_co_u32 v51, null, 0x1b8, v176
	v_fma_f32 v52, v19, 2.0, -v54
	v_fma_f32 v53, v20, 2.0, -v55
	;; [unrolled: 1-line block ×5, first 2 shown]
	v_sub_f32_e32 v9, v29, v37
	v_fma_f32 v20, v10, 2.0, -v22
	v_sub_f32_e32 v10, v30, v38
	v_fma_f32 v37, v27, 2.0, -v39
	v_fma_f32 v38, v28, 2.0, -v40
	v_sub_f32_e32 v27, v11, v23
	v_sub_f32_e32 v28, v12, v24
	v_fma_f32 v60, v13, 2.0, -v62
	v_fma_f32 v13, v3, 2.0, -v15
	v_sub_f32_e32 v2, v0, v43
	v_sub_f32_e32 v3, v1, v44
	v_lshlrev_b32_e32 v123, 4, v176
	v_lshlrev_b32_e32 v178, 4, v78
	;; [unrolled: 1-line block ×3, first 2 shown]
	v_sub_f32_e32 v63, v14, v26
	v_sub_f32_e32 v16, v4, v16
	;; [unrolled: 1-line block ×4, first 2 shown]
	v_fma_f32 v7, v29, 2.0, -v9
	v_fma_f32 v8, v30, 2.0, -v10
	;; [unrolled: 1-line block ×6, first 2 shown]
	s_barrier
	buffer_gl0_inv
	ds_write_b128 v123, v[52:55]
	v_lshlrev_b32_e32 v44, 1, v78
	ds_write_b128 v178, v[31:34]
	v_lshlrev_b32_e32 v52, 1, v45
	v_lshlrev_b32_e32 v180, 4, v49
	ds_write_b128 v179, v[56:59]
	v_lshlrev_b32_e32 v181, 4, v48
	v_lshlrev_b32_e32 v53, 1, v49
	;; [unrolled: 1-line block ×7, first 2 shown]
	v_add_nc_u32_e32 v196, 0x268, v50
	v_add_nc_u32_e32 v197, 0x2c0, v50
	;; [unrolled: 1-line block ×3, first 2 shown]
	v_lshlrev_b32_e32 v184, 4, v51
	v_fma_f32 v61, v14, 2.0, -v63
	v_fma_f32 v14, v4, 2.0, -v16
	v_lshlrev_b32_e32 v4, 3, v50
	v_fma_f32 v64, v5, 2.0, -v66
	v_fma_f32 v65, v6, 2.0, -v67
	ds_write_b128 v180, v[19:22]
	ds_write_b128 v181, v[37:40]
	ds_write_b128 v183, v[7:10]
	ds_write_b128 v185, v[25:28]
	ds_write_b128 v4, v[60:63] offset:4928
	ds_write_b128 v4, v[13:16] offset:5632
	;; [unrolled: 1-line block ×3, first 2 shown]
	s_and_saveexec_b32 s0, vcc_lo
	s_cbranch_execz .LBB0_7
; %bb.6:
	ds_write_b128 v184, v[0:3]
.LBB0_7:
	s_or_b32 exec_lo, exec_lo, s0
	v_add_nc_u32_e32 v17, 0x1000, v175
	v_add_nc_u32_e32 v16, 0x800, v175
	;; [unrolled: 1-line block ×4, first 2 shown]
	s_waitcnt lgkmcnt(0)
	s_barrier
	buffer_gl0_inv
	ds_read2_b64 v[8:11], v175 offset1:44
	ds_read2_b64 v[28:31], v16 offset0:206 offset1:250
	ds_read2_b64 v[4:7], v175 offset0:88 offset1:132
	;; [unrolled: 1-line block ×9, first 2 shown]
	s_and_saveexec_b32 s0, vcc_lo
	s_cbranch_execz .LBB0_9
; %bb.8:
	ds_read_b64 v[0:1], v175 offset:3520
	ds_read_b64 v[2:3], v175 offset:7216
.LBB0_9:
	s_or_b32 exec_lo, exec_lo, s0
	v_and_b32_e32 v177, 1, v176
	v_lshlrev_b32_e32 v182, 1, v51
	v_lshlrev_b32_e32 v57, 3, v177
	v_and_or_b32 v50, 0x7c, v50, v177
	v_and_or_b32 v44, 0xfc, v44, v177
	;; [unrolled: 1-line block ×4, first 2 shown]
	global_load_dwordx2 v[169:170], v57, s[2:3]
	v_and_or_b32 v53, 0x1fc, v54, v177
	v_and_or_b32 v54, 0x3fc, v55, v177
	;; [unrolled: 1-line block ×6, first 2 shown]
	v_lshlrev_b32_e32 v195, 3, v50
	v_lshlrev_b32_e32 v194, 3, v44
	;; [unrolled: 1-line block ×10, first 2 shown]
	s_waitcnt vmcnt(0) lgkmcnt(0)
	s_barrier
	buffer_gl0_inv
	v_mul_f32_e32 v44, v29, v170
	v_mul_f32_e32 v50, v28, v170
	;; [unrolled: 1-line block ×22, first 2 shown]
	v_fma_f32 v28, v28, v169, -v44
	v_fmac_f32_e32 v50, v29, v169
	v_fma_f32 v29, v30, v169, -v51
	v_fmac_f32_e32 v52, v31, v169
	v_fma_f32 v30, v24, v169, -v53
	v_fmac_f32_e32 v54, v25, v169
	v_fma_f32 v31, v26, v169, -v55
	v_fmac_f32_e32 v56, v27, v169
	v_fma_f32 v40, v40, v169, -v57
	v_fmac_f32_e32 v58, v41, v169
	v_fma_f32 v41, v42, v169, -v59
	v_fmac_f32_e32 v60, v43, v169
	v_fma_f32 v36, v36, v169, -v61
	v_fmac_f32_e32 v62, v37, v169
	v_fma_f32 v37, v38, v169, -v63
	v_fmac_f32_e32 v64, v39, v169
	v_fma_f32 v38, v32, v169, -v65
	v_fmac_f32_e32 v66, v33, v169
	v_fma_f32 v42, v34, v169, -v67
	v_fmac_f32_e32 v68, v35, v169
	v_fma_f32 v43, v2, v169, -v69
	v_fmac_f32_e32 v70, v3, v169
	v_sub_f32_e32 v2, v8, v28
	v_sub_f32_e32 v3, v9, v50
	;; [unrolled: 1-line block ×22, first 2 shown]
	v_fma_f32 v8, v8, 2.0, -v2
	v_fma_f32 v9, v9, 2.0, -v3
	;; [unrolled: 1-line block ×20, first 2 shown]
	ds_write2_b64 v195, v[8:9], v[2:3] offset1:2
	ds_write2_b64 v194, v[10:11], v[24:25] offset1:2
	;; [unrolled: 1-line block ×10, first 2 shown]
	s_and_saveexec_b32 s0, vcc_lo
	s_cbranch_execz .LBB0_11
; %bb.10:
	v_and_or_b32 v2, 0x3fc, v182, v177
	v_fma_f32 v1, v1, 2.0, -v97
	v_fma_f32 v0, v0, 2.0, -v96
	v_lshlrev_b32_e32 v2, 3, v2
	ds_write2_b64 v2, v[0:1], v[96:97] offset1:2
.LBB0_11:
	s_or_b32 exec_lo, exec_lo, s0
	v_and_b32_e32 v42, 3, v176
	s_waitcnt lgkmcnt(0)
	s_barrier
	buffer_gl0_inv
	v_add_nc_u32_e32 v103, 0x800, v175
	v_lshlrev_b32_e32 v0, 4, v42
	v_add_nc_u32_e32 v102, 0x1000, v175
	v_lshrrev_b32_e32 v41, 2, v176
	v_lshrrev_b32_e32 v43, 2, v78
	v_and_b32_e32 v56, 0xff, v176
	global_load_dwordx4 v[0:3], v0, s[2:3] offset:16
	v_and_b32_e32 v57, 0xff, v78
	ds_read2_b64 v[12:15], v175 offset1:44
	ds_read2_b64 v[8:11], v175 offset0:88 offset1:132
	ds_read2_b64 v[4:7], v175 offset0:176 offset1:220
	v_add_nc_u32_e32 v40, 0x1800, v175
	ds_read_b64 v[51:52], v175 offset:7040
	v_lshrrev_b32_e32 v53, 2, v49
	v_lshrrev_b32_e32 v54, 2, v48
	;; [unrolled: 1-line block ×3, first 2 shown]
	ds_read2_b64 v[16:19], v103 offset0:8 offset1:52
	ds_read2_b64 v[20:23], v102 offset0:104 offset1:148
	;; [unrolled: 1-line block ×7, first 2 shown]
	v_lshrrev_b32_e32 v44, 2, v45
	v_mul_u32_u24_e32 v41, 12, v41
	v_mul_u32_u24_e32 v43, 12, v43
	v_mul_lo_u16 v56, 0xab, v56
	v_mul_lo_u16 v57, 0xab, v57
	v_lshrrev_b32_e32 v46, 2, v46
	v_and_b32_e32 v58, 0xff, v45
	v_mul_u32_u24_e32 v44, 12, v44
	v_mul_u32_u24_e32 v53, 12, v53
	v_or_b32_e32 v59, v41, v42
	v_or_b32_e32 v60, v43, v42
	v_lshrrev_b16 v41, 11, v56
	v_lshrrev_b16 v43, 11, v57
	v_mul_u32_u24_e32 v54, 12, v54
	v_mul_u32_u24_e32 v55, 12, v55
	;; [unrolled: 1-line block ×3, first 2 shown]
	v_mul_lo_u16 v58, 0xab, v58
	v_or_b32_e32 v44, v44, v42
	v_or_b32_e32 v53, v53, v42
	v_mul_lo_u16 v56, v41, 12
	v_mul_lo_u16 v57, v43, 12
	v_or_b32_e32 v54, v54, v42
	v_or_b32_e32 v55, v55, v42
	;; [unrolled: 1-line block ×3, first 2 shown]
	v_lshrrev_b16 v42, 11, v58
	v_lshlrev_b32_e32 v205, 3, v59
	v_lshlrev_b32_e32 v203, 3, v44
	v_sub_nc_u16 v44, v176, v56
	v_lshlrev_b32_e32 v202, 3, v53
	v_sub_nc_u16 v53, v78, v57
	v_lshlrev_b32_e32 v204, 3, v60
	v_lshlrev_b32_e32 v200, 3, v55
	v_mul_lo_u16 v55, v42, 12
	v_and_b32_e32 v44, 0xff, v44
	s_waitcnt vmcnt(0) lgkmcnt(0)
	s_barrier
	buffer_gl0_inv
	v_lshlrev_b32_e32 v201, 3, v54
	v_lshlrev_b32_e32 v199, 3, v46
	v_and_b32_e32 v46, 0xff, v53
	v_mad_u64_u32 v[53:54], null, v44, 48, s[2:3]
	v_add_nc_u32_e32 v104, 0xc00, v175
	v_cmp_gt_u16_e64 s0, 40, v176
	v_mul_f32_e32 v56, v19, v1
	v_mul_f32_e32 v57, v18, v1
	;; [unrolled: 1-line block ×28, first 2 shown]
	v_fma_f32 v18, v18, v0, -v56
	v_fmac_f32_e32 v57, v19, v0
	v_fma_f32 v19, v20, v2, -v58
	v_fmac_f32_e32 v59, v21, v2
	;; [unrolled: 2-line block ×6, first 2 shown]
	v_fma_f32 v28, v47, v0, -v76
	v_fma_f32 v29, v38, v2, -v79
	v_fma_f32 v24, v32, v0, -v68
	v_fmac_f32_e32 v69, v33, v0
	v_fma_f32 v25, v30, v2, -v70
	v_fmac_f32_e32 v71, v31, v2
	v_fma_f32 v26, v34, v0, -v72
	;; [unrolled: 2-line block ×3, first 2 shown]
	v_fmac_f32_e32 v75, v37, v2
	v_fmac_f32_e32 v77, v48, v0
	;; [unrolled: 1-line block ×3, first 2 shown]
	v_fma_f32 v30, v49, v0, -v81
	v_fmac_f32_e32 v82, v50, v0
	v_fma_f32 v31, v51, v2, -v83
	v_fmac_f32_e32 v84, v52, v2
	v_add_f32_e32 v33, v18, v19
	v_add_f32_e32 v36, v57, v59
	;; [unrolled: 1-line block ×8, first 2 shown]
	v_sub_f32_e32 v34, v57, v59
	v_add_f32_e32 v35, v13, v57
	v_sub_f32_e32 v37, v18, v19
	v_add_f32_e32 v62, v24, v25
	v_add_f32_e32 v66, v69, v71
	;; [unrolled: 1-line block ×3, first 2 shown]
	v_sub_f32_e32 v72, v73, v75
	v_add_f32_e32 v74, v5, v73
	v_add_f32_e32 v73, v73, v75
	v_sub_f32_e32 v83, v77, v80
	v_add_f32_e32 v85, v7, v77
	v_add_f32_e32 v77, v77, v80
	;; [unrolled: 1-line block ×3, first 2 shown]
	v_sub_f32_e32 v89, v82, v84
	v_add_f32_e32 v90, v17, v82
	v_add_f32_e32 v82, v82, v84
	v_fma_f32 v12, -0.5, v33, v12
	v_fma_f32 v13, -0.5, v36, v13
	v_add_f32_e32 v38, v14, v20
	v_sub_f32_e32 v47, v61, v63
	v_add_f32_e32 v48, v15, v61
	v_sub_f32_e32 v50, v20, v21
	v_fma_f32 v14, -0.5, v39, v14
	v_fmac_f32_e32 v15, -0.5, v49
	v_add_f32_e32 v51, v8, v22
	v_sub_f32_e32 v56, v65, v67
	v_add_f32_e32 v57, v9, v65
	v_sub_f32_e32 v60, v22, v23
	v_add_f32_e32 v79, v6, v28
	v_fma_f32 v8, -0.5, v52, v8
	v_fma_f32 v9, -0.5, v58, v9
	v_fma_f32 v6, -0.5, v81, v6
	v_add_f32_e32 v61, v10, v24
	v_sub_f32_e32 v64, v69, v71
	v_add_f32_e32 v65, v11, v69
	v_sub_f32_e32 v68, v24, v25
	;; [unrolled: 2-line block ×3, first 2 shown]
	v_sub_f32_e32 v86, v28, v29
	v_add_f32_e32 v87, v16, v30
	v_sub_f32_e32 v91, v30, v31
	v_add_f32_e32 v18, v32, v19
	v_add_f32_e32 v19, v35, v59
	v_fma_f32 v10, -0.5, v62, v10
	v_fmac_f32_e32 v11, -0.5, v66
	v_fma_f32 v4, -0.5, v70, v4
	v_fma_f32 v5, -0.5, v73, v5
	v_fmac_f32_e32 v7, -0.5, v77
	v_fma_f32 v16, -0.5, v88, v16
	v_fmac_f32_e32 v17, -0.5, v82
	v_fmamk_f32 v32, v34, 0x3f5db3d7, v12
	v_fmamk_f32 v33, v37, 0xbf5db3d7, v13
	v_fmac_f32_e32 v12, 0xbf5db3d7, v34
	v_fmac_f32_e32 v13, 0x3f5db3d7, v37
	v_add_f32_e32 v20, v38, v21
	v_add_f32_e32 v21, v48, v63
	v_fmamk_f32 v34, v47, 0x3f5db3d7, v14
	v_fmamk_f32 v35, v50, 0xbf5db3d7, v15
	v_fmac_f32_e32 v14, 0xbf5db3d7, v47
	v_fmac_f32_e32 v15, 0x3f5db3d7, v50
	v_add_f32_e32 v22, v51, v23
	v_add_f32_e32 v23, v57, v67
	v_fmamk_f32 v36, v56, 0x3f5db3d7, v8
	v_fmamk_f32 v37, v60, 0xbf5db3d7, v9
	;; [unrolled: 1-line block ×3, first 2 shown]
	v_fmac_f32_e32 v6, 0xbf5db3d7, v83
	v_add_f32_e32 v24, v61, v25
	v_add_f32_e32 v25, v65, v71
	;; [unrolled: 1-line block ×8, first 2 shown]
	v_fmac_f32_e32 v8, 0xbf5db3d7, v56
	v_fmac_f32_e32 v9, 0x3f5db3d7, v60
	v_fmamk_f32 v38, v64, 0x3f5db3d7, v10
	v_fmac_f32_e32 v10, 0xbf5db3d7, v64
	v_fmamk_f32 v39, v68, 0xbf5db3d7, v11
	;; [unrolled: 2-line block ×7, first 2 shown]
	v_fmac_f32_e32 v17, 0x3f5db3d7, v91
	ds_write2_b64 v205, v[18:19], v[32:33] offset1:4
	ds_write_b64 v205, v[12:13] offset:64
	ds_write2_b64 v204, v[20:21], v[34:35] offset1:4
	ds_write_b64 v204, v[14:15] offset:64
	;; [unrolled: 2-line block ×7, first 2 shown]
	v_sub_nc_u16 v6, v45, v55
	v_mad_u64_u32 v[4:5], null, v46, 48, s[2:3]
	s_waitcnt lgkmcnt(0)
	s_barrier
	v_and_b32_e32 v45, 0xff, v6
	buffer_gl0_inv
	s_clause 0x3
	global_load_dwordx4 v[36:39], v[53:54], off offset:80
	global_load_dwordx4 v[32:35], v[53:54], off offset:96
	;; [unrolled: 1-line block ×4, first 2 shown]
	v_mad_u64_u32 v[6:7], null, v45, 48, s[2:3]
	s_clause 0x4
	global_load_dwordx4 v[20:23], v[4:5], off offset:96
	global_load_dwordx4 v[16:19], v[4:5], off offset:112
	;; [unrolled: 1-line block ×5, first 2 shown]
	v_mov_b32_e32 v59, 0x54
	ds_read2_b64 v[47:50], v175 offset0:88 offset1:132
	ds_read2_b64 v[51:54], v103 offset0:8 offset1:52
	;; [unrolled: 1-line block ×3, first 2 shown]
	v_mul_u32_u24_sdwa v41, v41, v59 dst_sel:DWORD dst_unused:UNUSED_PAD src0_sel:WORD_0 src1_sel:DWORD
	v_mul_u32_u24_sdwa v63, v43, v59 dst_sel:DWORD dst_unused:UNUSED_PAD src0_sel:WORD_0 src1_sel:DWORD
	;; [unrolled: 1-line block ×3, first 2 shown]
	ds_read2_b64 v[59:62], v102 offset0:16 offset1:60
	v_add_lshl_u32 v208, v41, v44, 3
	ds_read2_b64 v[41:44], v102 offset0:104 offset1:148
	v_add_lshl_u32 v207, v63, v46, 3
	;; [unrolled: 2-line block ×3, first 2 shown]
	ds_read2_b64 v[67:70], v175 offset0:176 offset1:220
	ds_read2_b64 v[71:74], v175 offset1:44
	ds_read2_b64 v[79:82], v103 offset0:184 offset1:228
	ds_read2_b64 v[83:86], v102 offset0:192 offset1:236
	ds_read_b64 v[45:46], v175 offset:7040
	s_waitcnt vmcnt(0) lgkmcnt(0)
	s_barrier
	buffer_gl0_inv
	v_mul_f32_e32 v40, v50, v37
	v_mul_f32_e32 v75, v49, v37
	;; [unrolled: 1-line block ×36, first 2 shown]
	v_fma_f32 v40, v49, v36, -v40
	v_fmac_f32_e32 v75, v50, v36
	v_fma_f32 v49, v51, v38, -v76
	v_fmac_f32_e32 v77, v52, v38
	;; [unrolled: 2-line block ×18, first 2 shown]
	v_add_f32_e32 v46, v40, v44
	v_add_f32_e32 v61, v75, v94
	;; [unrolled: 1-line block ×4, first 2 shown]
	v_sub_f32_e32 v40, v40, v44
	v_sub_f32_e32 v44, v75, v94
	;; [unrolled: 1-line block ×4, first 2 shown]
	v_add_f32_e32 v64, v50, v51
	v_add_f32_e32 v65, v88, v90
	v_sub_f32_e32 v50, v51, v50
	v_sub_f32_e32 v51, v90, v88
	v_add_f32_e32 v66, v52, v59
	v_add_f32_e32 v67, v98, v113
	;; [unrolled: 1-line block ×4, first 2 shown]
	v_sub_f32_e32 v52, v52, v59
	v_sub_f32_e32 v59, v98, v113
	;; [unrolled: 1-line block ×4, first 2 shown]
	v_add_f32_e32 v70, v54, v57
	v_add_f32_e32 v75, v107, v109
	v_sub_f32_e32 v54, v57, v54
	v_sub_f32_e32 v57, v109, v107
	v_add_f32_e32 v76, v60, v45
	v_add_f32_e32 v77, v115, v173
	v_sub_f32_e32 v45, v60, v45
	v_sub_f32_e32 v60, v115, v173
	;; [unrolled: 4-line block ×5, first 2 shown]
	v_sub_f32_e32 v46, v46, v64
	v_sub_f32_e32 v61, v61, v65
	;; [unrolled: 1-line block ×4, first 2 shown]
	v_add_f32_e32 v87, v50, v43
	v_add_f32_e32 v88, v51, v49
	v_sub_f32_e32 v89, v50, v43
	v_sub_f32_e32 v90, v51, v49
	;; [unrolled: 1-line block ×4, first 2 shown]
	v_add_f32_e32 v91, v68, v66
	v_add_f32_e32 v92, v69, v67
	v_sub_f32_e32 v93, v68, v66
	v_sub_f32_e32 v94, v69, v67
	;; [unrolled: 1-line block ×6, first 2 shown]
	v_add_f32_e32 v95, v54, v53
	v_add_f32_e32 v98, v57, v58
	v_sub_f32_e32 v99, v54, v53
	v_sub_f32_e32 v105, v57, v58
	;; [unrolled: 1-line block ×4, first 2 shown]
	v_add_f32_e32 v106, v79, v76
	v_add_f32_e32 v107, v80, v77
	v_sub_f32_e32 v109, v80, v77
	v_sub_f32_e32 v77, v77, v82
	v_add_f32_e32 v111, v56, v55
	v_sub_f32_e32 v113, v56, v55
	v_sub_f32_e32 v55, v55, v60
	v_add_f32_e32 v64, v64, v83
	v_add_f32_e32 v65, v65, v84
	v_sub_f32_e32 v50, v40, v50
	v_sub_f32_e32 v51, v44, v51
	v_add_f32_e32 v110, v41, v42
	v_sub_f32_e32 v112, v41, v42
	v_sub_f32_e32 v115, v42, v45
	v_add_f32_e32 v83, v87, v40
	v_add_f32_e32 v44, v88, v44
	v_mul_f32_e32 v42, 0x3f4a47b2, v46
	v_mul_f32_e32 v46, 0x3f4a47b2, v61
	;; [unrolled: 1-line block ×8, first 2 shown]
	v_add_f32_e32 v70, v70, v91
	v_add_f32_e32 v75, v75, v92
	v_sub_f32_e32 v54, v52, v54
	v_sub_f32_e32 v57, v59, v57
	v_sub_f32_e32 v108, v79, v76
	v_sub_f32_e32 v76, v76, v81
	v_sub_f32_e32 v79, v81, v79
	v_sub_f32_e32 v80, v82, v80
	v_sub_f32_e32 v114, v45, v41
	v_sub_f32_e32 v56, v60, v56
	v_add_f32_e32 v52, v95, v52
	v_add_f32_e32 v59, v98, v59
	v_mul_f32_e32 v66, 0x3f4a47b2, v66
	v_mul_f32_e32 v67, 0x3f4a47b2, v67
	;; [unrolled: 1-line block ×8, first 2 shown]
	v_add_f32_e32 v81, v81, v106
	v_add_f32_e32 v82, v82, v107
	v_add_f32_e32 v60, v111, v60
	v_mul_f32_e32 v77, 0x3f4a47b2, v77
	v_mul_f32_e32 v111, 0xbf08b237, v113
	;; [unrolled: 1-line block ×3, first 2 shown]
	v_add_f32_e32 v40, v71, v64
	v_add_f32_e32 v41, v72, v65
	v_fmamk_f32 v62, v62, 0x3d64c772, v42
	v_fmamk_f32 v63, v63, 0x3d64c772, v46
	v_fma_f32 v61, 0x3f3bfb3b, v85, -v61
	v_fma_f32 v71, 0x3f3bfb3b, v86, -v84
	;; [unrolled: 1-line block ×4, first 2 shown]
	v_fmamk_f32 v84, v50, 0x3eae86e6, v87
	v_fmamk_f32 v85, v51, 0x3eae86e6, v88
	v_fma_f32 v86, 0x3f5ff5aa, v43, -v87
	v_fma_f32 v87, 0x3f5ff5aa, v49, -v88
	;; [unrolled: 1-line block ×4, first 2 shown]
	v_add_f32_e32 v42, v73, v70
	v_add_f32_e32 v43, v74, v75
	v_add_f32_e32 v45, v110, v45
	v_mul_f32_e32 v76, 0x3f4a47b2, v76
	v_mul_f32_e32 v106, 0x3d64c772, v79
	;; [unrolled: 1-line block ×5, first 2 shown]
	v_fmamk_f32 v49, v68, 0x3d64c772, v66
	v_fmamk_f32 v50, v69, 0x3d64c772, v67
	v_fma_f32 v51, 0x3f3bfb3b, v93, -v91
	v_fma_f32 v73, 0x3f3bfb3b, v94, -v92
	;; [unrolled: 1-line block ×4, first 2 shown]
	v_fmamk_f32 v74, v54, 0x3eae86e6, v95
	v_fmamk_f32 v90, v57, 0x3eae86e6, v98
	v_fma_f32 v91, 0x3f5ff5aa, v53, -v95
	v_fma_f32 v92, 0x3f5ff5aa, v58, -v98
	;; [unrolled: 1-line block ×4, first 2 shown]
	v_add_f32_e32 v68, v47, v81
	v_add_f32_e32 v69, v48, v82
	v_fmamk_f32 v48, v80, 0x3d64c772, v77
	v_fma_f32 v58, 0xbf3bfb3b, v109, -v77
	v_fmamk_f32 v77, v56, 0x3eae86e6, v111
	v_fma_f32 v95, 0x3f5ff5aa, v55, -v111
	v_fma_f32 v99, 0xbeae86e6, v56, -v113
	v_fmamk_f32 v55, v64, 0xbf955555, v40
	v_fmamk_f32 v56, v65, 0xbf955555, v41
	v_fmac_f32_e32 v85, 0x3ee1c552, v44
	v_fmac_f32_e32 v87, 0x3ee1c552, v44
	;; [unrolled: 1-line block ×3, first 2 shown]
	v_fmamk_f32 v44, v70, 0xbf955555, v42
	v_fmamk_f32 v64, v75, 0xbf955555, v43
	;; [unrolled: 1-line block ×3, first 2 shown]
	v_fma_f32 v53, 0x3f3bfb3b, v108, -v106
	v_fma_f32 v54, 0x3f3bfb3b, v109, -v107
	;; [unrolled: 1-line block ×3, first 2 shown]
	v_fmamk_f32 v76, v114, 0x3eae86e6, v110
	v_fma_f32 v79, 0x3f5ff5aa, v115, -v110
	v_fma_f32 v98, 0xbeae86e6, v114, -v112
	v_fmac_f32_e32 v84, 0x3ee1c552, v83
	v_fmac_f32_e32 v74, 0x3ee1c552, v52
	;; [unrolled: 1-line block ×7, first 2 shown]
	v_fmamk_f32 v52, v81, 0xbf955555, v68
	v_fmamk_f32 v59, v82, 0xbf955555, v69
	v_fmac_f32_e32 v77, 0x3ee1c552, v60
	v_fmac_f32_e32 v95, 0x3ee1c552, v60
	;; [unrolled: 1-line block ×3, first 2 shown]
	v_add_f32_e32 v60, v62, v55
	v_add_f32_e32 v62, v63, v56
	v_fmac_f32_e32 v86, 0x3ee1c552, v83
	v_fmac_f32_e32 v88, 0x3ee1c552, v83
	v_add_f32_e32 v61, v61, v55
	v_add_f32_e32 v63, v71, v56
	;; [unrolled: 1-line block ×10, first 2 shown]
	v_fmac_f32_e32 v76, 0x3ee1c552, v45
	v_fmac_f32_e32 v79, 0x3ee1c552, v45
	;; [unrolled: 1-line block ×3, first 2 shown]
	v_add_f32_e32 v75, v47, v52
	v_add_f32_e32 v105, v48, v59
	;; [unrolled: 1-line block ×7, first 2 shown]
	v_sub_f32_e32 v45, v62, v84
	v_add_f32_e32 v46, v89, v55
	v_sub_f32_e32 v47, v56, v88
	v_sub_f32_e32 v48, v61, v87
	v_add_f32_e32 v49, v86, v63
	v_add_f32_e32 v50, v87, v61
	v_sub_f32_e32 v51, v63, v86
	v_sub_f32_e32 v52, v55, v89
	v_add_f32_e32 v53, v88, v56
	v_sub_f32_e32 v54, v60, v85
	v_add_f32_e32 v55, v84, v62
	v_add_f32_e32 v56, v90, v65
	v_sub_f32_e32 v57, v70, v74
	v_add_f32_e32 v58, v94, v66
	v_sub_f32_e32 v59, v64, v93
	v_sub_f32_e32 v60, v71, v92
	v_add_f32_e32 v61, v91, v72
	v_add_f32_e32 v80, v92, v71
	v_sub_f32_e32 v81, v72, v91
	v_sub_f32_e32 v82, v66, v94
	v_add_f32_e32 v83, v93, v64
	v_sub_f32_e32 v66, v65, v90
	v_add_f32_e32 v67, v74, v70
	v_add_f32_e32 v70, v77, v75
	v_sub_f32_e32 v71, v105, v76
	v_add_f32_e32 v72, v99, v108
	v_sub_f32_e32 v73, v109, v98
	v_sub_f32_e32 v92, v106, v95
	v_add_f32_e32 v93, v79, v107
	v_add_f32_e32 v94, v95, v106
	v_sub_f32_e32 v95, v107, v79
	v_sub_f32_e32 v88, v108, v99
	v_add_f32_e32 v89, v98, v109
	v_sub_f32_e32 v90, v75, v77
	v_add_f32_e32 v91, v76, v105
	ds_write2_b64 v208, v[40:41], v[44:45] offset1:12
	ds_write2_b64 v208, v[46:47], v[48:49] offset0:24 offset1:36
	ds_write2_b64 v208, v[50:51], v[52:53] offset0:48 offset1:60
	ds_write_b64 v208, v[54:55] offset:576
	ds_write2_b64 v207, v[42:43], v[56:57] offset1:12
	ds_write2_b64 v207, v[58:59], v[60:61] offset0:24 offset1:36
	ds_write2_b64 v207, v[80:81], v[82:83] offset0:48 offset1:60
	ds_write_b64 v207, v[66:67] offset:576
	;; [unrolled: 4-line block ×3, first 2 shown]
	s_waitcnt lgkmcnt(0)
	s_barrier
	buffer_gl0_inv
	ds_read2_b64 v[84:87], v175 offset1:84
	ds_read2_b64 v[44:47], v175 offset0:168 offset1:252
	ds_read2_b64 v[74:77], v103 offset0:80 offset1:164
	;; [unrolled: 1-line block ×4, first 2 shown]
	ds_read_b64 v[98:99], v175 offset:6720
	s_and_saveexec_b32 s1, s0
	s_cbranch_execz .LBB0_13
; %bb.12:
	v_add_nc_u32_e32 v40, 0x400, v175
	v_add_nc_u32_e32 v41, 0x1400, v175
	ds_read2_b64 v[80:83], v175 offset0:44 offset1:128
	ds_read2_b64 v[70:73], v103 offset0:124 offset1:208
	;; [unrolled: 1-line block ×5, first 2 shown]
	ds_read_b64 v[96:97], v175 offset:7072
.LBB0_13:
	s_or_b32 exec_lo, exec_lo, s1
	v_mad_u64_u32 v[56:57], null, 0x50, v176, s[2:3]
	s_clause 0x1
	global_load_dwordx4 v[40:43], v[56:57], off offset:656
	global_load_dwordx4 v[52:55], v[56:57], off offset:672
	s_waitcnt vmcnt(1) lgkmcnt(4)
	v_mul_f32_e32 v48, v45, v43
	v_mul_f32_e32 v106, v44, v43
	s_waitcnt vmcnt(0)
	v_mul_f32_e32 v108, v46, v53
	s_waitcnt lgkmcnt(3)
	v_mul_f32_e32 v110, v74, v55
	v_mul_f32_e32 v209, v86, v41
	v_fma_f32 v105, v44, v42, -v48
	v_mul_f32_e32 v44, v47, v53
	v_fmac_f32_e32 v106, v45, v42
	v_fmac_f32_e32 v108, v47, v52
	;; [unrolled: 1-line block ×4, first 2 shown]
	v_fma_f32 v107, v46, v52, -v44
	v_mul_f32_e32 v44, v75, v55
	v_fma_f32 v109, v74, v54, -v44
	s_clause 0x1
	global_load_dwordx4 v[48:51], v[56:57], off offset:688
	global_load_dwordx4 v[44:47], v[56:57], off offset:704
	s_waitcnt vmcnt(1)
	v_mul_f32_e32 v74, v77, v49
	s_waitcnt lgkmcnt(2)
	v_mul_f32_e32 v114, v62, v51
	v_mul_f32_e32 v112, v76, v49
	s_waitcnt vmcnt(0) lgkmcnt(1)
	v_mul_f32_e32 v122, v58, v47
	v_mul_f32_e32 v116, v64, v45
	v_fma_f32 v111, v76, v48, -v74
	v_mul_f32_e32 v74, v63, v51
	v_fmac_f32_e32 v114, v63, v50
	v_fmac_f32_e32 v112, v77, v48
	;; [unrolled: 1-line block ×4, first 2 shown]
	v_fma_f32 v113, v62, v50, -v74
	v_mul_f32_e32 v62, v65, v45
	v_sub_f32_e32 v227, v112, v114
	v_sub_f32_e32 v219, v108, v122
	v_add_f32_e32 v222, v108, v122
	v_sub_f32_e32 v223, v110, v116
	v_fma_f32 v115, v64, v44, -v62
	v_subrev_nc_u32_e32 v62, 40, v176
	v_add_f32_e32 v226, v110, v116
	v_add_f32_e32 v228, v111, v113
	v_mul_f32_e32 v117, 0xbe903f40, v223
	v_add_f32_e32 v224, v109, v115
	v_cndmask_b32_e64 v62, v62, v78, s0
	v_sub_f32_e32 v225, v109, v115
	v_mul_f32_e32 v119, 0x3f68dda4, v227
	v_sub_f32_e32 v229, v111, v113
	v_add_f32_e32 v230, v112, v114
	v_mul_i32_i24_e32 v63, 0x50, v62
	v_mul_hi_i32_i24_e32 v62, 0x50, v62
	v_mul_f32_e32 v118, 0xbe903f40, v225
	v_mul_f32_e32 v120, 0x3f68dda4, v229
	;; [unrolled: 1-line block ×3, first 2 shown]
	v_add_co_u32 v74, s1, s2, v63
	v_add_co_ci_u32_e64 v75, s1, s3, v62, s1
	v_mul_f32_e32 v62, v59, v47
	v_mul_f32_e32 v250, 0xbf4178ce, v229
	v_fma_f32 v121, v58, v46, -v62
	s_clause 0x1
	global_load_dwordx4 v[76:79], v[56:57], off offset:720
	global_load_dwordx4 v[56:59], v[74:75], off offset:656
	v_add_f32_e32 v220, v107, v121
	v_sub_f32_e32 v221, v107, v121
	v_mul_f32_e32 v246, 0x3f68dda4, v221
	s_waitcnt vmcnt(1)
	v_mul_f32_e32 v62, v61, v77
	v_mul_f32_e32 v172, v60, v77
	s_waitcnt lgkmcnt(0)
	v_mul_f32_e32 v174, v98, v79
	v_fma_f32 v171, v60, v76, -v62
	v_mul_f32_e32 v60, v99, v79
	v_fmac_f32_e32 v174, v99, v78
	v_fmac_f32_e32 v172, v61, v76
	v_mul_f32_e32 v99, 0xbf0a6770, v221
	v_add_f32_e32 v214, v105, v171
	v_fma_f32 v173, v98, v78, -v60
	v_mul_f32_e32 v60, v87, v41
	v_sub_f32_e32 v211, v209, v174
	v_sub_f32_e32 v213, v106, v172
	v_add_f32_e32 v216, v209, v174
	v_sub_f32_e32 v217, v105, v171
	v_fma_f32 v210, v86, v40, -v60
	v_mul_f32_e32 v64, 0xbf4178ce, v211
	v_mul_f32_e32 v65, 0x3f7d64f0, v213
	v_add_f32_e32 v218, v106, v172
	v_mul_f32_e32 v87, 0x3f7d64f0, v217
	v_add_f32_e32 v212, v210, v173
	v_sub_f32_e32 v215, v210, v173
	v_fma_f32 v61, 0xbe11bafb, v214, -v65
	v_mul_f32_e32 v98, 0xbf0a6770, v219
	v_fmamk_f32 v62, v218, 0xbe11bafb, v87
	v_fma_f32 v60, 0xbf27a4f4, v212, -v64
	v_mul_f32_e32 v86, 0xbf4178ce, v215
	v_mul_f32_e32 v231, 0xbe903f40, v211
	;; [unrolled: 1-line block ×4, first 2 shown]
	v_add_f32_e32 v60, v84, v60
	v_mul_f32_e32 v234, 0x3f0a6770, v217
	v_fmac_f32_e32 v64, 0xbf27a4f4, v212
	v_fma_f32 v63, 0x3f575c64, v214, -v232
	v_fmac_f32_e32 v65, 0xbe11bafb, v214
	v_add_f32_e32 v60, v61, v60
	v_fmamk_f32 v61, v216, 0xbf27a4f4, v86
	v_fmamk_f32 v235, v218, 0x3f575c64, v234
	v_fmac_f32_e32 v232, 0x3f575c64, v214
	v_mul_f32_e32 v243, 0xbf7d64f0, v215
	v_mul_f32_e32 v244, 0x3e903f40, v217
	v_add_f32_e32 v61, v85, v61
	v_add_f32_e32 v209, v85, v209
	;; [unrolled: 1-line block ×4, first 2 shown]
	v_fma_f32 v62, 0x3f575c64, v220, -v98
	v_fmac_f32_e32 v98, 0x3f575c64, v220
	v_add_f32_e32 v60, v62, v60
	v_fmamk_f32 v62, v222, 0x3f575c64, v99
	v_add_f32_e32 v61, v62, v61
	v_fma_f32 v62, 0xbf75a155, v224, -v117
	v_fmac_f32_e32 v117, 0xbf75a155, v224
	v_add_f32_e32 v60, v62, v60
	v_fmamk_f32 v62, v226, 0xbf75a155, v118
	v_add_f32_e32 v61, v62, v61
	;; [unrolled: 5-line block ×3, first 2 shown]
	v_fma_f32 v62, 0xbf75a155, v212, -v231
	v_fmac_f32_e32 v231, 0xbf75a155, v212
	v_add_f32_e32 v62, v84, v62
	v_add_f32_e32 v62, v63, v62
	v_fmamk_f32 v63, v216, 0xbf75a155, v233
	v_add_f32_e32 v63, v85, v63
	v_add_f32_e32 v63, v235, v63
	v_mul_f32_e32 v235, 0xbf4178ce, v219
	v_fma_f32 v236, 0xbf27a4f4, v220, -v235
	v_fmac_f32_e32 v235, 0xbf27a4f4, v220
	v_add_f32_e32 v62, v236, v62
	v_mul_f32_e32 v236, 0xbf4178ce, v221
	v_fmamk_f32 v237, v222, 0xbf27a4f4, v236
	v_add_f32_e32 v63, v237, v63
	v_mul_f32_e32 v237, 0x3f68dda4, v223
	v_fma_f32 v238, 0x3ed4b147, v224, -v237
	v_fmac_f32_e32 v237, 0x3ed4b147, v224
	v_add_f32_e32 v62, v238, v62
	v_mul_f32_e32 v238, 0x3f68dda4, v225
	v_fmamk_f32 v239, v226, 0x3ed4b147, v238
	;; [unrolled: 7-line block ×3, first 2 shown]
	v_add_f32_e32 v63, v241, v63
	ds_write2_b64 v103, v[60:61], v[62:63] offset0:80 offset1:164
	v_fma_f32 v61, 0xbf27a4f4, v216, -v86
	v_fma_f32 v62, 0xbe11bafb, v218, -v87
	;; [unrolled: 1-line block ×3, first 2 shown]
	v_add_f32_e32 v60, v84, v64
	v_fma_f32 v64, 0x3f575c64, v218, -v234
	v_add_f32_e32 v61, v85, v61
	v_mul_f32_e32 v233, 0xbf68dda4, v215
	v_add_f32_e32 v63, v85, v63
	v_add_f32_e32 v60, v65, v60
	v_mul_f32_e32 v234, 0xbf4178ce, v217
	v_add_f32_e32 v61, v62, v61
	v_fma_f32 v62, 0x3f575c64, v222, -v99
	v_add_f32_e32 v63, v64, v63
	v_fma_f32 v64, 0xbf27a4f4, v222, -v236
	v_add_f32_e32 v60, v98, v60
	v_mul_f32_e32 v236, 0x3e903f40, v221
	v_add_f32_e32 v61, v62, v61
	v_fma_f32 v62, 0xbf75a155, v226, -v118
	v_add_f32_e32 v63, v64, v63
	v_fma_f32 v64, 0x3ed4b147, v226, -v238
	;; [unrolled: 6-line block ×3, first 2 shown]
	v_add_f32_e32 v60, v119, v60
	v_mul_f32_e32 v240, 0x3f0a6770, v229
	v_add_f32_e32 v61, v62, v61
	v_add_f32_e32 v62, v84, v231
	;; [unrolled: 1-line block ×3, first 2 shown]
	v_fma_f32 v64, 0xbf75a155, v218, -v244
	s_waitcnt vmcnt(0)
	v_mul_f32_e32 v87, v66, v59
	v_add_f32_e32 v62, v232, v62
	v_fmac_f32_e32 v87, v67, v58
	v_add_f32_e32 v62, v235, v62
	v_add_f32_e32 v62, v237, v62
	;; [unrolled: 1-line block ×3, first 2 shown]
	ds_write2_b64 v104, v[62:63], v[60:61] offset0:120 offset1:204
	v_mul_f32_e32 v60, 0xbf68dda4, v211
	v_mul_f32_e32 v61, 0xbf4178ce, v213
	v_fma_f32 v62, 0xbf27a4f4, v218, -v234
	v_mul_f32_e32 v63, 0x3e903f40, v213
	v_fma_f32 v231, 0x3ed4b147, v212, -v60
	v_fmac_f32_e32 v60, 0x3ed4b147, v212
	v_fma_f32 v232, 0xbf27a4f4, v214, -v61
	v_fmac_f32_e32 v61, 0xbf27a4f4, v214
	;; [unrolled: 2-line block ×3, first 2 shown]
	v_add_f32_e32 v60, v84, v60
	v_add_f32_e32 v60, v61, v60
	v_fma_f32 v61, 0x3ed4b147, v216, -v233
	v_add_f32_e32 v61, v85, v61
	v_add_f32_e32 v61, v62, v61
	v_mul_f32_e32 v62, 0x3e903f40, v219
	v_fma_f32 v235, 0xbf75a155, v220, -v62
	v_fmac_f32_e32 v62, 0xbf75a155, v220
	v_add_f32_e32 v60, v62, v60
	v_fma_f32 v62, 0xbf75a155, v222, -v236
	v_add_f32_e32 v61, v62, v61
	v_mul_f32_e32 v62, 0x3f7d64f0, v223
	v_fma_f32 v237, 0xbe11bafb, v224, -v62
	v_fmac_f32_e32 v62, 0xbe11bafb, v224
	v_add_f32_e32 v60, v62, v60
	v_fma_f32 v62, 0xbe11bafb, v226, -v238
	;; [unrolled: 6-line block ×3, first 2 shown]
	v_add_f32_e32 v61, v62, v61
	v_mul_f32_e32 v62, 0xbf7d64f0, v211
	v_fma_f32 v241, 0xbe11bafb, v212, -v62
	v_fmac_f32_e32 v62, 0xbe11bafb, v212
	v_add_f32_e32 v62, v84, v62
	v_add_f32_e32 v62, v63, v62
	v_fma_f32 v63, 0xbe11bafb, v216, -v243
	v_add_f32_e32 v63, v85, v63
	v_add_f32_e32 v63, v64, v63
	v_mul_f32_e32 v64, 0x3f68dda4, v219
	v_fma_f32 v245, 0x3ed4b147, v220, -v64
	v_fmac_f32_e32 v64, 0x3ed4b147, v220
	v_add_f32_e32 v62, v64, v62
	v_fma_f32 v64, 0x3ed4b147, v222, -v246
	v_add_f32_e32 v63, v64, v63
	v_mul_f32_e32 v64, 0xbf0a6770, v223
	v_fma_f32 v247, 0x3f575c64, v224, -v64
	v_fmac_f32_e32 v64, 0x3f575c64, v224
	v_add_f32_e32 v62, v64, v62
	v_fma_f32 v64, 0x3f575c64, v226, -v248
	v_add_f32_e32 v63, v64, v63
	v_mul_f32_e32 v64, 0xbf4178ce, v227
	v_fma_f32 v249, 0xbf27a4f4, v228, -v64
	v_fmac_f32_e32 v64, 0xbf27a4f4, v228
	v_add_f32_e32 v62, v64, v62
	v_fma_f32 v64, 0xbf27a4f4, v230, -v250
	v_add_f32_e32 v63, v64, v63
	ds_write2_b64 v102, v[62:63], v[60:61] offset0:160 offset1:244
	v_mul_f32_e32 v60, v67, v59
	v_fma_f32 v86, v66, v58, -v60
	s_clause 0x1
	global_load_dwordx4 v[64:67], v[74:75], off offset:672
	global_load_dwordx4 v[60:63], v[74:75], off offset:688
	s_waitcnt vmcnt(1)
	v_mul_f32_e32 v98, v69, v65
	v_mul_f32_e32 v119, v68, v65
	;; [unrolled: 1-line block ×3, first 2 shown]
	s_waitcnt vmcnt(0)
	v_mul_f32_e32 v117, v72, v61
	v_mul_f32_e32 v118, v92, v63
	v_fma_f32 v98, v68, v64, -v98
	v_mul_f32_e32 v68, v71, v67
	v_fmac_f32_e32 v119, v69, v64
	v_fmac_f32_e32 v104, v71, v66
	;; [unrolled: 1-line block ×4, first 2 shown]
	v_fma_f32 v99, v70, v66, -v68
	v_mul_f32_e32 v68, v73, v61
	v_fma_f32 v102, v72, v60, -v68
	v_mul_f32_e32 v68, v93, v63
	v_fma_f32 v103, v92, v62, -v68
	s_clause 0x1
	global_load_dwordx4 v[68:71], v[74:75], off offset:704
	global_load_dwordx4 v[72:75], v[74:75], off offset:720
	s_waitcnt vmcnt(1)
	v_mul_f32_e32 v92, v95, v69
	v_mul_f32_e32 v120, v94, v69
	v_fma_f32 v93, v94, v68, -v92
	v_mul_f32_e32 v92, v89, v71
	v_mul_f32_e32 v94, v88, v71
	v_fmac_f32_e32 v120, v95, v68
	v_mul_f32_e32 v95, 0xbf0a6770, v215
	v_fmamk_f32 v215, v216, 0xbe11bafb, v243
	v_fma_f32 v92, v88, v70, -v92
	s_waitcnt vmcnt(0)
	v_mul_f32_e32 v88, v91, v73
	v_fmac_f32_e32 v94, v89, v70
	v_mul_f32_e32 v89, v90, v73
	v_add_f32_e32 v215, v85, v215
	v_fma_f32 v88, v90, v72, -v88
	v_mul_f32_e32 v90, 0xbf0a6770, v211
	v_fmac_f32_e32 v89, v91, v72
	v_fmamk_f32 v211, v216, 0x3f575c64, v95
	v_fma_f32 v95, 0x3f575c64, v216, -v95
	v_fma_f32 v91, 0x3f575c64, v212, -v90
	v_fmac_f32_e32 v90, 0x3f575c64, v212
	v_fmamk_f32 v212, v216, 0x3ed4b147, v233
	v_add_f32_e32 v211, v85, v211
	v_add_f32_e32 v95, v85, v95
	;; [unrolled: 1-line block ×6, first 2 shown]
	v_fmamk_f32 v85, v218, 0xbf27a4f4, v234
	v_add_f32_e32 v212, v84, v241
	v_add_f32_e32 v84, v232, v90
	v_fmamk_f32 v90, v222, 0xbf75a155, v236
	v_add_f32_e32 v85, v85, v91
	v_fmamk_f32 v91, v218, 0xbf75a155, v244
	v_add_f32_e32 v84, v235, v84
	v_add_f32_e32 v85, v90, v85
	v_fmamk_f32 v90, v226, 0xbe11bafb, v238
	v_add_f32_e32 v91, v91, v215
	v_add_f32_e32 v84, v237, v84
	v_mul_f32_e32 v215, 0xbf7d64f0, v221
	v_mul_f32_e32 v221, 0xbe903f40, v229
	v_add_f32_e32 v85, v90, v85
	v_fmamk_f32 v90, v230, 0x3f575c64, v240
	v_add_f32_e32 v84, v239, v84
	v_sub_f32_e32 v229, v99, v93
	v_add_f32_e32 v85, v90, v85
	v_add_f32_e32 v90, v242, v212
	v_fmamk_f32 v212, v222, 0x3ed4b147, v246
	v_add_f32_e32 v90, v245, v90
	v_add_f32_e32 v91, v212, v91
	v_fmamk_f32 v212, v226, 0x3f575c64, v248
	;; [unrolled: 3-line block ×3, first 2 shown]
	v_add_f32_e32 v90, v249, v90
	v_add_f32_e32 v91, v212, v91
	v_mul_f32_e32 v212, 0xbf68dda4, v213
	v_mul_f32_e32 v213, 0xbf68dda4, v217
	;; [unrolled: 1-line block ×4, first 2 shown]
	ds_write2_b64 v175, v[84:85], v[90:91] offset0:168 offset1:252
	v_fma_f32 v84, 0x3ed4b147, v214, -v212
	v_fmamk_f32 v85, v218, 0x3ed4b147, v213
	v_add_f32_e32 v91, v209, v106
	v_fmac_f32_e32 v212, 0x3ed4b147, v214
	v_mul_f32_e32 v209, 0xbf4178ce, v229
	v_add_f32_e32 v84, v84, v216
	v_add_f32_e32 v85, v85, v211
	v_mul_f32_e32 v211, 0xbf7d64f0, v219
	v_mul_f32_e32 v216, 0xbf4178ce, v223
	v_mul_f32_e32 v219, 0xbe903f40, v227
	v_add_f32_e32 v91, v91, v108
	v_sub_f32_e32 v227, v86, v88
	v_fma_f32 v90, 0xbe11bafb, v220, -v211
	v_fmac_f32_e32 v211, 0xbe11bafb, v220
	v_sub_f32_e32 v220, v104, v120
	v_add_f32_e32 v91, v91, v110
	v_mul_f32_e32 v223, 0xbf4178ce, v227
	v_add_f32_e32 v84, v90, v84
	v_fmamk_f32 v90, v222, 0xbe11bafb, v215
	v_add_f32_e32 v91, v91, v112
	v_add_f32_e32 v85, v90, v85
	v_fma_f32 v90, 0xbf27a4f4, v224, -v216
	v_add_f32_e32 v91, v91, v114
	v_fmac_f32_e32 v216, 0xbf27a4f4, v224
	v_add_f32_e32 v84, v90, v84
	v_fmamk_f32 v90, v226, 0xbf27a4f4, v217
	v_add_f32_e32 v91, v91, v116
	v_add_f32_e32 v85, v90, v85
	v_fma_f32 v90, 0xbf75a155, v228, -v219
	v_add_f32_e32 v91, v91, v122
	v_fmac_f32_e32 v219, 0xbf75a155, v228
	v_sub_f32_e32 v228, v98, v92
	v_add_f32_e32 v84, v90, v84
	v_fmamk_f32 v90, v230, 0xbf75a155, v221
	v_add_f32_e32 v91, v91, v172
	v_mul_f32_e32 v122, 0xbf7d64f0, v228
	v_mul_f32_e32 v224, 0x3e903f40, v228
	v_add_f32_e32 v85, v90, v85
	v_add_f32_e32 v90, v210, v105
	;; [unrolled: 1-line block ×5, first 2 shown]
	v_mul_f32_e32 v109, v82, v57
	v_add_f32_e32 v90, v90, v111
	v_fmac_f32_e32 v109, v83, v56
	v_mul_f32_e32 v83, v83, v57
	v_add_f32_e32 v90, v90, v113
	v_mul_f32_e32 v113, 0xbf4178ce, v220
	v_fma_f32 v108, v82, v56, -v83
	v_add_f32_e32 v90, v90, v115
	v_add_f32_e32 v90, v90, v121
	v_mul_f32_e32 v121, 0xbf68dda4, v227
	v_add_f32_e32 v90, v90, v171
	v_add_f32_e32 v90, v90, v173
	ds_write2_b64 v175, v[90:91], v[84:85] offset1:84
	v_mul_f32_e32 v84, v97, v75
	v_mul_f32_e32 v90, v96, v75
	v_fma_f32 v85, 0x3ed4b147, v218, -v213
	v_fma_f32 v91, 0xbe11bafb, v222, -v215
	v_sub_f32_e32 v218, v87, v89
	v_fma_f32 v84, v96, v74, -v84
	v_add_f32_e32 v96, v212, v233
	v_fmac_f32_e32 v90, v97, v74
	v_add_f32_e32 v85, v85, v95
	v_fma_f32 v95, 0xbf27a4f4, v226, -v217
	v_add_f32_e32 v83, v108, v84
	v_add_f32_e32 v96, v211, v96
	v_mul_f32_e32 v110, 0xbf68dda4, v218
	v_add_f32_e32 v85, v91, v85
	v_fma_f32 v91, 0xbf75a155, v230, -v221
	v_sub_f32_e32 v226, v108, v84
	v_add_f32_e32 v96, v216, v96
	v_sub_f32_e32 v216, v109, v90
	v_add_f32_e32 v85, v95, v85
	v_add_f32_e32 v107, v109, v90
	v_mul_f32_e32 v116, 0xbf0a6770, v226
	v_add_f32_e32 v95, v87, v89
	v_mul_f32_e32 v115, 0xbf0a6770, v216
	v_add_f32_e32 v231, v91, v85
	v_add_f32_e32 v230, v219, v96
	v_sub_f32_e32 v219, v119, v94
	v_fma_f32 v96, 0x3ed4b147, v95, -v121
	v_fmamk_f32 v82, v83, 0x3f575c64, v115
	v_sub_f32_e32 v217, v117, v118
	v_sub_f32_e32 v222, v102, v103
	v_mul_f32_e32 v112, 0xbf7d64f0, v219
	v_mul_f32_e32 v215, 0xbf68dda4, v216
	v_add_f32_e32 v85, v80, v82
	v_add_f32_e32 v82, v86, v88
	v_mul_f32_e32 v214, 0xbf4178ce, v218
	v_mul_f32_e32 v221, 0xbf68dda4, v226
	v_fma_f32 v210, 0xbf27a4f4, v95, -v223
	v_mul_f32_e32 v213, 0x3e903f40, v219
	v_fmamk_f32 v91, v82, 0x3ed4b147, v110
	v_fmamk_f32 v174, v82, 0xbf27a4f4, v214
	v_mul_f32_e32 v211, 0x3f7d64f0, v220
	ds_write_b64 v175, v[230:231] offset:6720
	v_add_f32_e32 v91, v91, v85
	v_fma_f32 v85, 0x3f575c64, v107, -v116
	v_add_f32_e32 v85, v81, v85
	v_add_f32_e32 v96, v96, v85
	;; [unrolled: 1-line block ×3, first 2 shown]
	v_fmamk_f32 v97, v85, 0xbe11bafb, v112
	v_add_f32_e32 v105, v97, v91
	v_add_f32_e32 v97, v119, v94
	v_fma_f32 v91, 0xbe11bafb, v97, -v122
	v_add_f32_e32 v96, v91, v96
	v_add_f32_e32 v91, v99, v93
	v_fmamk_f32 v106, v91, 0xbf27a4f4, v113
	v_add_f32_e32 v106, v106, v105
	v_add_f32_e32 v105, v104, v120
	v_fma_f32 v111, 0xbf27a4f4, v105, -v209
	v_add_f32_e32 v172, v111, v96
	v_add_f32_e32 v96, v102, v103
	v_mul_f32_e32 v111, 0xbe903f40, v217
	v_fmamk_f32 v114, v96, 0xbf75a155, v111
	v_add_f32_e32 v171, v114, v106
	v_add_f32_e32 v106, v117, v118
	v_mul_f32_e32 v114, 0xbe903f40, v222
	v_fma_f32 v173, 0xbf75a155, v106, -v114
	v_add_f32_e32 v172, v173, v172
	v_fmamk_f32 v173, v83, 0x3ed4b147, v215
	v_add_f32_e32 v173, v80, v173
	v_add_f32_e32 v173, v174, v173
	v_fma_f32 v174, 0x3ed4b147, v107, -v221
	v_add_f32_e32 v174, v81, v174
	v_add_f32_e32 v174, v210, v174
	v_fmamk_f32 v210, v85, 0xbf75a155, v213
	v_add_f32_e32 v173, v210, v173
	v_fma_f32 v210, 0xbf75a155, v97, -v224
	v_add_f32_e32 v174, v210, v174
	v_fmamk_f32 v210, v91, 0xbe11bafb, v211
	v_add_f32_e32 v173, v210, v173
	v_fma_f32 v210, 0xbe11bafb, v105, -v225
	v_add_f32_e32 v174, v210, v174
	v_mul_f32_e32 v210, 0x3f0a6770, v217
	v_fmamk_f32 v212, v96, 0x3f575c64, v210
	v_add_f32_e32 v173, v212, v173
	v_mul_f32_e32 v212, 0x3f0a6770, v222
	v_fma_f32 v232, 0x3f575c64, v106, -v212
	v_add_f32_e32 v174, v232, v174
	s_and_saveexec_b32 s1, s0
	s_cbranch_execz .LBB0_15
; %bb.14:
	v_mul_f32_e32 v234, 0xbf27a4f4, v107
	v_mul_f32_e32 v235, 0xbe11bafb, v95
	;; [unrolled: 1-line block ×5, first 2 shown]
	v_fmamk_f32 v230, v226, 0x3f4178ce, v234
	v_fmamk_f32 v231, v227, 0xbf7d64f0, v235
	v_mul_f32_e32 v239, 0xbf0a6770, v219
	v_fmamk_f32 v232, v82, 0xbe11bafb, v237
	v_fmac_f32_e32 v234, 0xbf4178ce, v226
	v_add_f32_e32 v230, v81, v230
	v_mul_f32_e32 v240, 0xbf75a155, v105
	v_fmac_f32_e32 v235, 0x3f7d64f0, v227
	v_mul_f32_e32 v241, 0xbe903f40, v220
	v_add_f32_e32 v234, v81, v234
	v_add_f32_e32 v230, v231, v230
	v_fmamk_f32 v231, v83, 0xbf27a4f4, v236
	v_mul_f32_e32 v242, 0x3ed4b147, v106
	v_mul_f32_e32 v243, 0x3f68dda4, v217
	v_add_f32_e32 v234, v235, v234
	v_fma_f32 v235, 0xbf27a4f4, v83, -v236
	v_add_f32_e32 v231, v80, v231
	v_fma_f32 v236, 0xbe11bafb, v82, -v237
	v_mul_f32_e32 v244, 0xbe903f40, v226
	v_mul_f32_e32 v245, 0x3f0a6770, v227
	v_add_f32_e32 v235, v80, v235
	v_add_f32_e32 v231, v232, v231
	v_fmamk_f32 v232, v228, 0x3f0a6770, v238
	v_fmac_f32_e32 v238, 0xbf0a6770, v228
	v_fma_f32 v237, 0x3ed4b147, v96, -v243
	v_add_f32_e32 v235, v236, v235
	v_fma_f32 v236, 0x3f575c64, v85, -v239
	v_add_f32_e32 v230, v232, v230
	v_fmamk_f32 v232, v85, 0x3f575c64, v239
	v_add_f32_e32 v234, v238, v234
	v_mul_f32_e32 v226, 0xbf7d64f0, v226
	v_add_f32_e32 v235, v236, v235
	v_fma_f32 v236, 0xbf75a155, v91, -v241
	v_add_f32_e32 v231, v232, v231
	v_fmamk_f32 v232, v229, 0x3e903f40, v240
	v_fmac_f32_e32 v240, 0xbe903f40, v229
	v_fmamk_f32 v233, v95, 0x3f575c64, v245
	v_add_f32_e32 v236, v236, v235
	v_mul_f32_e32 v246, 0xbf4178ce, v228
	v_add_f32_e32 v230, v232, v230
	v_fmamk_f32 v232, v91, 0xbf75a155, v241
	v_add_f32_e32 v234, v240, v234
	v_mul_f32_e32 v227, 0x3e903f40, v227
	v_mul_f32_e32 v247, 0x3f68dda4, v229
	;; [unrolled: 1-line block ×3, first 2 shown]
	v_add_f32_e32 v232, v232, v231
	v_fmamk_f32 v231, v222, 0xbf68dda4, v242
	v_fmac_f32_e32 v242, 0x3f68dda4, v222
	v_mul_f32_e32 v248, 0xbe903f40, v216
	v_mul_f32_e32 v229, 0xbf0a6770, v229
	;; [unrolled: 1-line block ×3, first 2 shown]
	v_add_f32_e32 v231, v231, v230
	v_fmamk_f32 v230, v96, 0x3ed4b147, v243
	v_add_f32_e32 v235, v242, v234
	v_add_f32_e32 v234, v237, v236
	v_fmamk_f32 v236, v107, 0xbe11bafb, v226
	v_fmamk_f32 v237, v95, 0xbf75a155, v227
	v_add_f32_e32 v230, v230, v232
	v_fmamk_f32 v232, v107, 0xbf75a155, v244
	v_fma_f32 v250, 0x3f575c64, v82, -v249
	v_add_f32_e32 v236, v81, v236
	v_mul_f32_e32 v218, 0x3e903f40, v218
	v_mul_f32_e32 v253, 0xbf7d64f0, v222
	v_add_f32_e32 v232, v81, v232
	v_mul_f32_e32 v222, 0xbf4178ce, v222
	v_add_f32_e32 v236, v237, v236
	v_fmamk_f32 v237, v97, 0x3ed4b147, v228
	v_fma_f32 v238, 0xbf75a155, v82, -v218
	v_add_f32_e32 v232, v233, v232
	v_fmamk_f32 v233, v97, 0xbf27a4f4, v246
	v_mul_f32_e32 v254, 0xbf7d64f0, v217
	v_add_f32_e32 v236, v237, v236
	v_fmamk_f32 v237, v105, 0x3f575c64, v229
	v_add_f32_e32 v108, v80, v108
	v_add_f32_e32 v232, v233, v232
	v_fmamk_f32 v233, v105, 0x3ed4b147, v247
	v_add_f32_e32 v109, v81, v109
	v_add_f32_e32 v236, v237, v236
	v_mul_f32_e32 v237, 0xbf7d64f0, v216
	v_add_f32_e32 v86, v108, v86
	v_add_f32_e32 v232, v233, v232
	v_fma_f32 v233, 0xbf75a155, v83, -v248
	v_add_f32_e32 v87, v109, v87
	v_fma_f32 v216, 0xbe11bafb, v83, -v237
	v_add_f32_e32 v86, v86, v98
	v_mul_f32_e32 v109, 0x3ed4b147, v82
	v_add_f32_e32 v233, v80, v233
	v_add_f32_e32 v87, v87, v119
	;; [unrolled: 1-line block ×4, first 2 shown]
	v_sub_f32_e32 v109, v109, v110
	v_add_f32_e32 v233, v250, v233
	v_mul_f32_e32 v250, 0xbf4178ce, v219
	v_mul_f32_e32 v219, 0x3f68dda4, v219
	v_add_f32_e32 v216, v238, v216
	v_add_f32_e32 v87, v87, v104
	;; [unrolled: 1-line block ×3, first 2 shown]
	v_fma_f32 v251, 0xbf27a4f4, v85, -v250
	v_fma_f32 v238, 0x3ed4b147, v85, -v219
	v_mul_f32_e32 v98, 0xbe11bafb, v85
	v_add_f32_e32 v87, v87, v117
	v_add_f32_e32 v86, v86, v103
	;; [unrolled: 1-line block ×3, first 2 shown]
	v_mul_f32_e32 v251, 0x3f68dda4, v220
	v_mul_f32_e32 v220, 0xbf0a6770, v220
	v_add_f32_e32 v216, v238, v216
	v_add_f32_e32 v87, v87, v118
	v_add_f32_e32 v86, v86, v93
	v_fmac_f32_e32 v248, 0xbf75a155, v83
	v_fma_f32 v238, 0x3f575c64, v91, -v220
	v_sub_f32_e32 v98, v98, v112
	v_add_f32_e32 v87, v87, v120
	v_add_f32_e32 v92, v86, v92
	v_mul_f32_e32 v102, 0xbf27a4f4, v91
	v_add_f32_e32 v216, v238, v216
	v_mul_f32_e32 v238, 0xbf4178ce, v217
	v_fmamk_f32 v217, v106, 0xbf27a4f4, v222
	v_add_f32_e32 v94, v87, v94
	v_fma_f32 v87, 0xbf75a155, v107, -v244
	v_add_f32_e32 v88, v92, v88
	v_fma_f32 v92, 0xbe11bafb, v107, -v226
	;; [unrolled: 2-line block ×3, first 2 shown]
	v_fmac_f32_e32 v237, 0xbe11bafb, v83
	v_add_f32_e32 v87, v81, v87
	v_fmac_f32_e32 v249, 0x3f575c64, v82
	v_sub_f32_e32 v102, v102, v113
	v_add_f32_e32 v216, v236, v216
	v_mul_f32_e32 v236, 0x3ed4b147, v107
	v_fma_f32 v93, 0x3f575c64, v95, -v245
	v_fmac_f32_e32 v218, 0xbf75a155, v82
	v_fma_f32 v252, 0x3ed4b147, v91, -v251
	v_fmac_f32_e32 v250, 0xbf27a4f4, v85
	v_add_f32_e32 v221, v221, v236
	v_mul_f32_e32 v236, 0xbf27a4f4, v95
	v_add_f32_e32 v93, v93, v87
	v_fmac_f32_e32 v219, 0x3ed4b147, v85
	v_mul_f32_e32 v103, 0xbf75a155, v106
	v_add_f32_e32 v221, v81, v221
	v_add_f32_e32 v223, v223, v236
	v_mul_f32_e32 v87, 0xbf75a155, v96
	v_add_f32_e32 v252, v252, v233
	v_fmamk_f32 v233, v106, 0xbe11bafb, v253
	v_add_f32_e32 v89, v94, v89
	v_add_f32_e32 v221, v223, v221
	v_mul_f32_e32 v223, 0xbf75a155, v97
	v_fma_f32 v94, 0x3ed4b147, v105, -v247
	v_fmac_f32_e32 v251, 0x3ed4b147, v91
	v_fmac_f32_e32 v220, 0x3f575c64, v91
	v_add_f32_e32 v103, v114, v103
	v_add_f32_e32 v223, v224, v223
	v_mul_f32_e32 v224, 0x3ed4b147, v83
	v_sub_f32_e32 v104, v87, v111
	v_add_f32_e32 v233, v233, v232
	v_fma_f32 v232, 0xbe11bafb, v96, -v254
	v_add_f32_e32 v221, v223, v221
	v_sub_f32_e32 v215, v224, v215
	v_mul_f32_e32 v224, 0xbf27a4f4, v82
	v_mul_f32_e32 v223, 0xbe11bafb, v105
	v_add_f32_e32 v89, v89, v90
	v_fmac_f32_e32 v254, 0xbe11bafb, v96
	v_add_f32_e32 v215, v80, v215
	v_sub_f32_e32 v214, v224, v214
	v_add_f32_e32 v223, v225, v223
	v_fmac_f32_e32 v238, 0xbf27a4f4, v96
	v_add_f32_e32 v88, v88, v84
	v_add_nc_u32_e32 v84, 0x400, v175
	v_add_f32_e32 v214, v214, v215
	v_mul_f32_e32 v215, 0xbf75a155, v85
	v_fma_f32 v85, 0xbf27a4f4, v106, -v222
	v_add_f32_e32 v232, v232, v252
	v_sub_f32_e32 v213, v215, v213
	v_add_f32_e32 v215, v223, v221
	v_add_f32_e32 v213, v213, v214
	v_mul_f32_e32 v214, 0xbe11bafb, v91
	v_sub_f32_e32 v211, v214, v211
	v_mul_f32_e32 v214, 0x3f575c64, v106
	v_add_f32_e32 v213, v211, v213
	v_add_f32_e32 v212, v212, v214
	v_mul_f32_e32 v211, 0x3f575c64, v96
	v_sub_f32_e32 v210, v211, v210
	v_add_f32_e32 v211, v212, v215
	v_mul_f32_e32 v212, 0x3f575c64, v107
	v_add_f32_e32 v210, v210, v213
	v_add_f32_e32 v116, v116, v212
	v_mul_f32_e32 v212, 0x3ed4b147, v95
	v_add_f32_e32 v116, v81, v116
	v_add_f32_e32 v121, v121, v212
	;; [unrolled: 1-line block ×3, first 2 shown]
	v_fma_f32 v92, 0xbf75a155, v95, -v227
	v_add_f32_e32 v116, v121, v116
	v_mul_f32_e32 v121, 0xbe11bafb, v97
	v_add_f32_e32 v81, v92, v81
	v_add_f32_e32 v121, v122, v121
	v_mul_f32_e32 v122, 0x3f575c64, v83
	v_add_f32_e32 v83, v80, v248
	v_add_f32_e32 v116, v121, v116
	v_sub_f32_e32 v115, v122, v115
	v_mul_f32_e32 v121, 0xbf27a4f4, v105
	v_add_f32_e32 v82, v249, v83
	v_fma_f32 v83, 0x3ed4b147, v97, -v228
	v_add_f32_e32 v108, v80, v115
	v_add_f32_e32 v80, v80, v237
	;; [unrolled: 1-line block ×4, first 2 shown]
	v_fma_f32 v83, 0x3f575c64, v105, -v229
	v_add_f32_e32 v108, v109, v108
	v_add_f32_e32 v80, v218, v80
	;; [unrolled: 1-line block ×11, first 2 shown]
	v_fma_f32 v102, 0xbf27a4f4, v97, -v246
	v_add_f32_e32 v91, v220, v80
	v_add_nc_u32_e32 v85, 0x800, v175
	v_add_f32_e32 v80, v254, v82
	v_add_f32_e32 v86, v104, v98
	;; [unrolled: 1-line block ×4, first 2 shown]
	v_add_nc_u32_e32 v91, 0x1400, v175
	v_add_f32_e32 v90, v94, v93
	v_fma_f32 v93, 0xbe11bafb, v106, -v253
	v_add_f32_e32 v81, v93, v90
	v_add_nc_u32_e32 v90, 0x1000, v175
	ds_write2_b64 v175, v[88:89], v[86:87] offset0:44 offset1:128
	ds_write2_b64 v84, v[210:211], v[216:217] offset0:84 offset1:168
	;; [unrolled: 1-line block ×5, first 2 shown]
	ds_write_b64 v175, v[171:172] offset:7072
.LBB0_15:
	s_or_b32 exec_lo, exec_lo, s1
	s_waitcnt lgkmcnt(0)
	s_barrier
	buffer_gl0_inv
	global_load_dwordx2 v[86:87], v[126:127], off offset:1248
	v_add_co_u32 v80, s1, 0x1ce0, v100
	v_add_co_ci_u32_e64 v81, s1, 0, v101, s1
	v_add_co_u32 v82, s1, 0x2800, v100
	v_add_co_ci_u32_e64 v83, s1, 0, v101, s1
	s_clause 0x8
	global_load_dwordx2 v[94:95], v[80:81], off offset:352
	global_load_dwordx2 v[98:99], v[82:83], off offset:848
	;; [unrolled: 1-line block ×9, first 2 shown]
	v_add_co_u32 v84, s1, 0x3000, v100
	v_add_co_ci_u32_e64 v85, s1, 0, v101, s1
	s_clause 0x1
	global_load_dwordx2 v[116:117], v[84:85], off offset:208
	global_load_dwordx2 v[118:119], v[84:85], off offset:560
	v_add_co_u32 v88, s1, 0x2000, v100
	v_add_co_ci_u32_e64 v89, s1, 0, v101, s1
	s_clause 0x7
	global_load_dwordx2 v[100:101], v[88:89], off offset:1312
	global_load_dwordx2 v[120:121], v[88:89], off offset:1664
	;; [unrolled: 1-line block ×8, first 2 shown]
	ds_read2_b64 v[82:85], v175 offset1:44
	s_waitcnt vmcnt(19) lgkmcnt(0)
	v_mul_f32_e32 v89, v83, v87
	v_mul_f32_e32 v88, v82, v87
	v_fma_f32 v87, v82, v86, -v89
	v_fmac_f32_e32 v88, v83, v86
	v_add_nc_u32_e32 v82, 0x800, v175
	v_add_nc_u32_e32 v83, 0x1000, v175
	s_waitcnt vmcnt(18)
	v_mul_f32_e32 v96, v85, v95
	v_mul_f32_e32 v222, v84, v95
	ds_write_b64 v175, v[87:88]
	ds_read2_b64 v[86:89], v82 offset0:206 offset1:250
	ds_read2_b64 v[90:93], v175 offset0:88 offset1:132
	v_fma_f32 v221, v84, v94, -v96
	v_fmac_f32_e32 v222, v85, v94
	ds_read2_b64 v[94:97], v83 offset0:38 offset1:82
	s_waitcnt vmcnt(17) lgkmcnt(2)
	v_mul_f32_e32 v84, v87, v99
	v_mul_f32_e32 v224, v86, v99
	s_waitcnt vmcnt(16)
	v_mul_f32_e32 v99, v88, v103
	v_fma_f32 v223, v86, v98, -v84
	v_mul_f32_e32 v84, v89, v103
	v_fmac_f32_e32 v224, v87, v98
	v_fmac_f32_e32 v99, v89, v102
	s_waitcnt vmcnt(15) lgkmcnt(1)
	v_mul_f32_e32 v103, v90, v105
	v_fma_f32 v98, v88, v102, -v84
	v_mul_f32_e32 v88, v91, v105
	ds_read2_b64 v[84:87], v175 offset0:176 offset1:220
	v_fmac_f32_e32 v103, v91, v104
	s_waitcnt vmcnt(14)
	v_mul_f32_e32 v105, v92, v107
	v_fma_f32 v102, v90, v104, -v88
	v_mul_f32_e32 v88, v93, v107
	s_waitcnt vmcnt(13) lgkmcnt(1)
	v_mul_f32_e32 v107, v94, v109
	v_fmac_f32_e32 v105, v93, v106
	v_fma_f32 v104, v92, v106, -v88
	ds_read2_b64 v[88:91], v83 offset0:126 offset1:170
	v_mul_f32_e32 v92, v95, v109
	s_waitcnt vmcnt(12)
	v_mul_f32_e32 v109, v96, v111
	v_fmac_f32_e32 v107, v95, v108
	v_fma_f32 v106, v94, v108, -v92
	v_mul_f32_e32 v92, v97, v111
	v_fmac_f32_e32 v109, v97, v110
	s_waitcnt vmcnt(11) lgkmcnt(1)
	v_mul_f32_e32 v97, v84, v113
	s_waitcnt vmcnt(10)
	v_mul_f32_e32 v111, v86, v115
	v_fma_f32 v108, v96, v110, -v92
	v_mul_f32_e32 v92, v85, v113
	v_mul_f32_e32 v110, v87, v115
	v_fmac_f32_e32 v97, v85, v112
	v_fmac_f32_e32 v111, v87, v114
	v_fma_f32 v96, v84, v112, -v92
	ds_read2_b64 v[92:95], v82 offset0:8 offset1:52
	s_waitcnt vmcnt(9) lgkmcnt(1)
	v_mul_f32_e32 v85, v89, v117
	v_add_nc_u32_e32 v84, 0x1400, v175
	v_fma_f32 v110, v86, v114, -v110
	v_mul_f32_e32 v113, v88, v117
	v_fma_f32 v112, v88, v116, -v85
	ds_read2_b64 v[85:88], v84 offset0:86 offset1:130
	v_fmac_f32_e32 v113, v89, v116
	s_waitcnt vmcnt(8)
	v_mul_f32_e32 v89, v91, v119
	v_fma_f32 v89, v90, v118, -v89
	v_mul_f32_e32 v90, v90, v119
	s_waitcnt vmcnt(7) lgkmcnt(1)
	v_mul_f32_e32 v115, v92, v101
	v_fmac_f32_e32 v90, v91, v118
	v_mul_f32_e32 v91, v93, v101
	s_waitcnt vmcnt(6)
	v_mul_f32_e32 v116, v95, v121
	v_mul_f32_e32 v101, v94, v121
	v_fmac_f32_e32 v115, v93, v100
	v_fma_f32 v114, v92, v100, -v91
	s_waitcnt vmcnt(5) lgkmcnt(0)
	v_mul_f32_e32 v91, v86, v210
	v_fma_f32 v100, v94, v120, -v116
	v_fmac_f32_e32 v101, v95, v120
	ds_read2_b64 v[92:95], v82 offset0:96 offset1:140
	v_mul_f32_e32 v117, v85, v210
	s_waitcnt vmcnt(4)
	v_mul_f32_e32 v118, v88, v212
	v_mul_f32_e32 v119, v87, v212
	v_fma_f32 v116, v85, v209, -v91
	v_add_nc_u32_e32 v91, 0x1800, v175
	v_fmac_f32_e32 v117, v86, v209
	v_fma_f32 v118, v87, v211, -v118
	v_fmac_f32_e32 v119, v88, v211
	v_add_nc_u32_e32 v211, 0xc00, v175
	ds_read2_b64 v[85:88], v91 offset0:46 offset1:90
	s_waitcnt vmcnt(3) lgkmcnt(1)
	v_mul_f32_e32 v120, v93, v214
	v_mul_f32_e32 v121, v92, v214
	s_waitcnt vmcnt(2)
	v_mul_f32_e32 v122, v95, v216
	v_mul_f32_e32 v210, v94, v216
	v_fma_f32 v120, v92, v213, -v120
	v_fmac_f32_e32 v121, v93, v213
	v_fma_f32 v209, v94, v215, -v122
	v_fmac_f32_e32 v210, v95, v215
	v_add_nc_u32_e32 v122, 0x400, v175
	s_waitcnt vmcnt(1) lgkmcnt(0)
	v_mul_f32_e32 v92, v86, v218
	v_mul_f32_e32 v93, v85, v218
	s_waitcnt vmcnt(0)
	v_mul_f32_e32 v94, v88, v220
	v_mul_f32_e32 v95, v87, v220
	v_fma_f32 v92, v85, v217, -v92
	v_fmac_f32_e32 v93, v86, v217
	v_fma_f32 v94, v87, v219, -v94
	v_fmac_f32_e32 v95, v88, v219
	ds_write2_b64 v175, v[221:222], v[102:103] offset0:44 offset1:88
	ds_write2_b64 v211, v[98:99], v[106:107] offset0:122 offset1:166
	;; [unrolled: 1-line block ×9, first 2 shown]
	ds_write_b64 v175, v[94:95] offset:6864
	s_and_saveexec_b32 s2, vcc_lo
	s_cbranch_execz .LBB0_17
; %bb.16:
	v_add_co_u32 v85, s1, 0x800, v80
	v_add_co_ci_u32_e64 v86, s1, 0, v81, s1
	v_add_co_u32 v80, s1, 0x1800, v80
	v_add_co_ci_u32_e64 v81, s1, 0, v81, s1
	s_clause 0x1
	global_load_dwordx2 v[85:86], v[85:86], off offset:1472
	global_load_dwordx2 v[80:81], v[80:81], off offset:1072
	ds_read_b64 v[87:88], v175 offset:3520
	ds_read_b64 v[89:90], v175 offset:7216
	s_waitcnt vmcnt(1) lgkmcnt(1)
	v_mul_f32_e32 v92, v88, v86
	v_mul_f32_e32 v93, v87, v86
	s_waitcnt vmcnt(0) lgkmcnt(0)
	v_mul_f32_e32 v94, v90, v81
	v_mul_f32_e32 v86, v89, v81
	v_fma_f32 v92, v87, v85, -v92
	v_fmac_f32_e32 v93, v88, v85
	v_fma_f32 v85, v89, v80, -v94
	v_fmac_f32_e32 v86, v90, v80
	ds_write_b64 v175, v[92:93] offset:3520
	ds_write_b64 v175, v[85:86] offset:7216
.LBB0_17:
	s_or_b32 exec_lo, exec_lo, s2
	s_waitcnt lgkmcnt(0)
	s_barrier
	buffer_gl0_inv
	ds_read2_b64 v[107:110], v175 offset1:44
	ds_read2_b64 v[119:122], v82 offset0:206 offset1:250
	ds_read2_b64 v[99:102], v175 offset0:88 offset1:132
	;; [unrolled: 1-line block ×9, first 2 shown]
	v_lshlrev_b32_e32 v209, 3, v196
	v_lshlrev_b32_e32 v197, 3, v197
	;; [unrolled: 1-line block ×3, first 2 shown]
	s_and_saveexec_b32 s1, vcc_lo
	s_cbranch_execz .LBB0_19
; %bb.18:
	ds_read_b64 v[173:174], v175 offset:3520
	ds_read_b64 v[171:172], v175 offset:7216
.LBB0_19:
	s_or_b32 exec_lo, exec_lo, s1
	s_waitcnt lgkmcnt(8)
	v_sub_f32_e32 v121, v109, v121
	v_sub_f32_e32 v122, v110, v122
	s_waitcnt lgkmcnt(2)
	v_sub_f32_e32 v220, v89, v105
	s_waitcnt lgkmcnt(0)
	v_sub_f32_e32 v91, v83, v91
	v_sub_f32_e32 v212, v107, v119
	;; [unrolled: 1-line block ×5, first 2 shown]
	v_fma_f32 v119, v109, 2.0, -v121
	v_sub_f32_e32 v109, v101, v117
	v_fma_f32 v120, v110, 2.0, -v122
	v_sub_f32_e32 v110, v102, v118
	v_sub_f32_e32 v103, v87, v103
	;; [unrolled: 1-line block ×3, first 2 shown]
	v_fma_f32 v218, v89, 2.0, -v220
	v_fma_f32 v89, v83, 2.0, -v91
	v_sub_f32_e32 v82, v173, v171
	v_sub_f32_e32 v83, v174, v172
	;; [unrolled: 1-line block ×4, first 2 shown]
	v_fma_f32 v210, v107, 2.0, -v212
	v_fma_f32 v211, v108, 2.0, -v213
	;; [unrolled: 1-line block ×5, first 2 shown]
	v_sub_f32_e32 v99, v97, v113
	v_fma_f32 v108, v102, 2.0, -v110
	v_sub_f32_e32 v100, v98, v114
	v_sub_f32_e32 v221, v90, v106
	v_fma_f32 v101, v87, 2.0, -v103
	v_fma_f32 v102, v88, 2.0, -v104
	v_sub_f32_e32 v92, v84, v92
	v_sub_f32_e32 v87, v85, v93
	;; [unrolled: 1-line block ×3, first 2 shown]
	v_fma_f32 v80, v173, 2.0, -v82
	v_fma_f32 v81, v174, 2.0, -v83
	;; [unrolled: 1-line block ×10, first 2 shown]
	s_barrier
	buffer_gl0_inv
	ds_write_b128 v123, v[210:213]
	ds_write_b128 v178, v[119:122]
	;; [unrolled: 1-line block ×10, first 2 shown]
	s_and_saveexec_b32 s1, vcc_lo
	s_cbranch_execz .LBB0_21
; %bb.20:
	ds_write_b128 v184, v[80:83]
.LBB0_21:
	s_or_b32 exec_lo, exec_lo, s1
	v_add_nc_u32_e32 v85, 0x1000, v175
	v_add_nc_u32_e32 v84, 0x800, v175
	;; [unrolled: 1-line block ×4, first 2 shown]
	s_waitcnt lgkmcnt(0)
	s_barrier
	buffer_gl0_inv
	ds_read2_b64 v[100:103], v175 offset1:44
	ds_read2_b64 v[116:119], v84 offset0:206 offset1:250
	ds_read2_b64 v[92:95], v175 offset0:88 offset1:132
	;; [unrolled: 1-line block ×9, first 2 shown]
	s_and_saveexec_b32 s1, vcc_lo
	s_cbranch_execz .LBB0_23
; %bb.22:
	ds_read_b64 v[80:81], v175 offset:3520
	ds_read_b64 v[82:83], v175 offset:7216
.LBB0_23:
	s_or_b32 exec_lo, exec_lo, s1
	s_waitcnt lgkmcnt(8)
	v_mul_f32_e32 v171, v170, v117
	v_mul_f32_e32 v172, v170, v116
	;; [unrolled: 1-line block ×4, first 2 shown]
	s_waitcnt lgkmcnt(0)
	v_mul_f32_e32 v178, v170, v105
	v_fmac_f32_e32 v171, v169, v116
	v_fma_f32 v116, v169, v117, -v172
	v_mul_f32_e32 v117, v170, v109
	v_mul_f32_e32 v172, v170, v108
	v_fmac_f32_e32 v173, v169, v118
	v_mul_f32_e32 v118, v170, v111
	v_fma_f32 v119, v169, v119, -v174
	v_fmac_f32_e32 v117, v169, v108
	v_mul_f32_e32 v108, v170, v110
	v_mul_f32_e32 v174, v170, v123
	v_fma_f32 v109, v169, v109, -v172
	v_fmac_f32_e32 v118, v169, v110
	v_mul_f32_e32 v172, v170, v121
	v_fma_f32 v111, v169, v111, -v108
	v_mul_f32_e32 v108, v170, v122
	v_fmac_f32_e32 v174, v169, v122
	v_mul_f32_e32 v110, v170, v120
	v_fmac_f32_e32 v172, v169, v120
	v_fmac_f32_e32 v178, v169, v104
	v_fma_f32 v122, v169, v123, -v108
	v_mul_f32_e32 v108, v170, v112
	v_fma_f32 v120, v169, v121, -v110
	v_mul_f32_e32 v121, v170, v113
	v_mul_f32_e32 v123, v170, v115
	;; [unrolled: 1-line block ×3, first 2 shown]
	v_fma_f32 v179, v169, v113, -v108
	v_mul_f32_e32 v108, v170, v104
	v_mul_f32_e32 v181, v170, v107
	;; [unrolled: 1-line block ×4, first 2 shown]
	v_fmac_f32_e32 v121, v169, v112
	v_fma_f32 v184, v169, v105, -v108
	v_mul_f32_e32 v105, v170, v82
	v_fmac_f32_e32 v123, v169, v114
	v_fma_f32 v180, v169, v115, -v110
	v_fmac_f32_e32 v181, v169, v106
	v_fma_f32 v170, v169, v107, -v104
	v_fmac_f32_e32 v183, v169, v82
	v_sub_f32_e32 v104, v100, v171
	v_fma_f32 v83, v169, v83, -v105
	v_sub_f32_e32 v105, v101, v116
	v_sub_f32_e32 v106, v102, v173
	;; [unrolled: 1-line block ×9, first 2 shown]
	v_fma_f32 v100, v100, 2.0, -v104
	v_fma_f32 v101, v101, 2.0, -v105
	v_sub_f32_e32 v114, v98, v174
	v_sub_f32_e32 v115, v99, v122
	;; [unrolled: 1-line block ×12, first 2 shown]
	v_fma_f32 v102, v102, 2.0, -v106
	v_fma_f32 v103, v103, 2.0, -v107
	;; [unrolled: 1-line block ×18, first 2 shown]
	s_barrier
	buffer_gl0_inv
	ds_write2_b64 v195, v[100:101], v[104:105] offset1:2
	ds_write2_b64 v194, v[102:103], v[106:107] offset1:2
	;; [unrolled: 1-line block ×10, first 2 shown]
	s_and_saveexec_b32 s1, vcc_lo
	s_cbranch_execz .LBB0_25
; %bb.24:
	v_and_or_b32 v84, 0x3fc, v182, v177
	v_fma_f32 v81, v81, 2.0, -v83
	v_fma_f32 v80, v80, 2.0, -v82
	v_lshlrev_b32_e32 v84, 3, v84
	ds_write2_b64 v84, v[80:81], v[82:83] offset1:2
.LBB0_25:
	s_or_b32 exec_lo, exec_lo, s1
	v_add_nc_u32_e32 v85, 0x800, v175
	v_add_nc_u32_e32 v84, 0x1000, v175
	s_waitcnt lgkmcnt(0)
	s_barrier
	buffer_gl0_inv
	ds_read2_b64 v[86:89], v85 offset0:8 offset1:52
	ds_read2_b64 v[90:93], v84 offset0:104 offset1:148
	;; [unrolled: 1-line block ×3, first 2 shown]
	ds_read2_b64 v[98:101], v175 offset1:44
	ds_read2_b64 v[102:105], v175 offset0:88 offset1:132
	v_add_nc_u32_e32 v122, 0x1800, v175
	ds_read2_b64 v[106:109], v175 offset0:176 offset1:220
	ds_read_b64 v[80:81], v175 offset:7040
	ds_read2_b64 v[110:113], v84 offset0:192 offset1:236
	ds_read2_b64 v[114:117], v85 offset0:184 offset1:228
	;; [unrolled: 1-line block ×4, first 2 shown]
	s_waitcnt lgkmcnt(0)
	s_barrier
	buffer_gl0_inv
	v_mul_f32_e32 v123, v1, v89
	v_mul_f32_e32 v173, v1, v88
	;; [unrolled: 1-line block ×8, first 2 shown]
	v_fmac_f32_e32 v123, v0, v88
	v_fma_f32 v88, v0, v89, -v173
	v_fmac_f32_e32 v174, v2, v90
	v_fma_f32 v89, v2, v91, -v177
	v_fma_f32 v90, v0, v95, -v179
	v_mul_f32_e32 v95, v1, v97
	v_fmac_f32_e32 v180, v2, v92
	v_mul_f32_e32 v91, v1, v96
	v_fma_f32 v92, v2, v93, -v181
	v_mul_f32_e32 v173, v3, v111
	v_mul_f32_e32 v93, v3, v110
	v_fmac_f32_e32 v95, v0, v96
	v_fma_f32 v96, v0, v97, -v91
	v_mul_f32_e32 v177, v1, v115
	v_fmac_f32_e32 v173, v2, v110
	v_mul_f32_e32 v91, v1, v114
	v_fma_f32 v97, v2, v111, -v93
	v_mul_f32_e32 v110, v3, v113
	v_mul_f32_e32 v93, v3, v112
	v_fmac_f32_e32 v177, v0, v114
	;; [unrolled: 8-line block ×3, first 2 shown]
	v_fma_f32 v115, v0, v117, -v91
	v_mul_f32_e32 v116, v1, v170
	v_fmac_f32_e32 v113, v2, v118
	v_fma_f32 v117, v2, v119, -v93
	v_mul_f32_e32 v118, v3, v121
	v_mul_f32_e32 v93, v3, v120
	;; [unrolled: 1-line block ×3, first 2 shown]
	v_fmac_f32_e32 v116, v0, v169
	v_mul_f32_e32 v169, v1, v172
	v_fmac_f32_e32 v118, v2, v120
	v_mul_f32_e32 v1, v1, v171
	v_fma_f32 v120, v2, v121, -v93
	v_mul_f32_e32 v121, v3, v81
	v_mul_f32_e32 v3, v3, v80
	v_fmac_f32_e32 v178, v0, v94
	v_fma_f32 v119, v0, v170, -v91
	v_fmac_f32_e32 v169, v0, v171
	v_fma_f32 v170, v0, v172, -v1
	v_add_f32_e32 v1, v98, v123
	v_fma_f32 v171, v2, v81, -v3
	v_add_f32_e32 v3, v88, v89
	v_sub_f32_e32 v81, v88, v89
	v_add_f32_e32 v88, v99, v88
	v_add_f32_e32 v0, v123, v174
	v_fmac_f32_e32 v121, v2, v80
	v_add_f32_e32 v2, v1, v174
	v_fma_f32 v1, -0.5, v3, v99
	v_add_f32_e32 v3, v88, v89
	v_add_f32_e32 v88, v178, v180
	;; [unrolled: 1-line block ×3, first 2 shown]
	v_fma_f32 v0, -0.5, v0, v98
	v_sub_f32_e32 v91, v123, v174
	v_sub_f32_e32 v93, v90, v92
	v_fma_f32 v100, -0.5, v88, v100
	v_add_f32_e32 v88, v89, v180
	v_add_f32_e32 v89, v101, v90
	v_fmamk_f32 v80, v81, 0xbf5db3d7, v0
	v_fmac_f32_e32 v0, 0x3f5db3d7, v81
	v_fmamk_f32 v81, v91, 0x3f5db3d7, v1
	v_fmac_f32_e32 v1, 0xbf5db3d7, v91
	v_add_f32_e32 v91, v90, v92
	v_add_f32_e32 v89, v89, v92
	;; [unrolled: 1-line block ×3, first 2 shown]
	v_sub_f32_e32 v99, v96, v97
	v_sub_f32_e32 v94, v178, v180
	v_fmac_f32_e32 v101, -0.5, v91
	v_fmamk_f32 v90, v93, 0xbf5db3d7, v100
	v_fma_f32 v92, -0.5, v92, v102
	v_fmac_f32_e32 v100, 0x3f5db3d7, v93
	v_add_f32_e32 v93, v102, v95
	v_add_f32_e32 v98, v96, v97
	;; [unrolled: 1-line block ×3, first 2 shown]
	v_fmamk_f32 v96, v99, 0xbf5db3d7, v92
	v_fmac_f32_e32 v92, 0x3f5db3d7, v99
	v_add_f32_e32 v99, v177, v110
	v_fmamk_f32 v91, v94, 0x3f5db3d7, v101
	v_fmac_f32_e32 v101, 0xbf5db3d7, v94
	v_add_f32_e32 v94, v93, v173
	v_fma_f32 v93, -0.5, v98, v103
	v_sub_f32_e32 v98, v95, v173
	v_add_f32_e32 v95, v102, v97
	v_add_f32_e32 v102, v104, v177
	;; [unrolled: 1-line block ×3, first 2 shown]
	v_fma_f32 v104, -0.5, v99, v104
	v_sub_f32_e32 v99, v111, v112
	v_add_f32_e32 v111, v105, v111
	v_fmamk_f32 v97, v98, 0x3f5db3d7, v93
	v_fmac_f32_e32 v93, 0xbf5db3d7, v98
	v_add_f32_e32 v98, v102, v110
	v_fmamk_f32 v102, v99, 0xbf5db3d7, v104
	v_fmac_f32_e32 v104, 0x3f5db3d7, v99
	v_add_f32_e32 v99, v111, v112
	v_add_f32_e32 v111, v114, v113
	v_fmac_f32_e32 v105, -0.5, v103
	v_sub_f32_e32 v110, v177, v110
	v_add_f32_e32 v112, v106, v114
	v_add_f32_e32 v123, v115, v117
	v_fma_f32 v106, -0.5, v111, v106
	v_sub_f32_e32 v111, v115, v117
	v_add_f32_e32 v115, v107, v115
	v_fmamk_f32 v103, v110, 0x3f5db3d7, v105
	v_fmac_f32_e32 v105, 0xbf5db3d7, v110
	v_add_f32_e32 v110, v112, v113
	v_fma_f32 v107, -0.5, v123, v107
	v_sub_f32_e32 v114, v114, v113
	v_fmamk_f32 v112, v111, 0xbf5db3d7, v106
	v_fmac_f32_e32 v106, 0x3f5db3d7, v111
	v_add_f32_e32 v111, v115, v117
	v_add_f32_e32 v115, v116, v118
	;; [unrolled: 1-line block ×4, first 2 shown]
	v_fmamk_f32 v113, v114, 0x3f5db3d7, v107
	v_fmac_f32_e32 v107, 0xbf5db3d7, v114
	v_fma_f32 v108, -0.5, v115, v108
	v_sub_f32_e32 v115, v119, v120
	v_add_f32_e32 v114, v117, v118
	v_add_f32_e32 v117, v109, v119
	v_fmac_f32_e32 v109, -0.5, v123
	v_sub_f32_e32 v118, v116, v118
	v_fmamk_f32 v116, v115, 0xbf5db3d7, v108
	v_fmac_f32_e32 v108, 0x3f5db3d7, v115
	v_add_f32_e32 v115, v117, v120
	v_add_f32_e32 v119, v169, v121
	v_fmamk_f32 v117, v118, 0x3f5db3d7, v109
	v_fmac_f32_e32 v109, 0xbf5db3d7, v118
	v_add_f32_e32 v118, v170, v171
	v_add_f32_e32 v120, v86, v169
	v_fma_f32 v86, -0.5, v119, v86
	v_sub_f32_e32 v119, v170, v171
	v_add_f32_e32 v123, v87, v170
	v_fmac_f32_e32 v87, -0.5, v118
	v_sub_f32_e32 v169, v169, v121
	v_add_f32_e32 v118, v120, v121
	v_fmamk_f32 v120, v119, 0xbf5db3d7, v86
	v_fmac_f32_e32 v86, 0x3f5db3d7, v119
	v_add_f32_e32 v119, v123, v171
	v_fmamk_f32 v121, v169, 0x3f5db3d7, v87
	v_fmac_f32_e32 v87, 0xbf5db3d7, v169
	ds_write2_b64 v205, v[2:3], v[80:81] offset1:4
	ds_write_b64 v205, v[0:1] offset:64
	ds_write2_b64 v204, v[88:89], v[90:91] offset1:4
	ds_write_b64 v204, v[100:101] offset:64
	;; [unrolled: 2-line block ×7, first 2 shown]
	s_waitcnt lgkmcnt(0)
	s_barrier
	buffer_gl0_inv
	ds_read2_b64 v[86:89], v175 offset0:88 offset1:132
	ds_read2_b64 v[0:3], v85 offset0:8 offset1:52
	;; [unrolled: 1-line block ×4, first 2 shown]
	ds_read2_b64 v[98:101], v175 offset1:44
	ds_read2_b64 v[102:105], v84 offset0:104 offset1:148
	ds_read2_b64 v[106:109], v122 offset0:24 offset1:68
	ds_read2_b64 v[110:113], v175 offset0:176 offset1:220
	ds_read2_b64 v[114:117], v85 offset0:184 offset1:228
	ds_read2_b64 v[118:121], v84 offset0:192 offset1:236
	ds_read_b64 v[80:81], v175 offset:7040
	s_waitcnt lgkmcnt(0)
	s_barrier
	buffer_gl0_inv
	v_mul_f32_e32 v122, v37, v89
	v_mul_f32_e32 v37, v37, v88
	;; [unrolled: 1-line block ×4, first 2 shown]
	v_fmac_f32_e32 v122, v36, v88
	v_mul_f32_e32 v88, v39, v1
	v_mul_f32_e32 v39, v39, v0
	v_fma_f32 v36, v36, v89, -v37
	v_fmac_f32_e32 v123, v32, v92
	v_mul_f32_e32 v89, v23, v97
	v_fmac_f32_e32 v88, v38, v0
	v_fma_f32 v0, v38, v1, -v39
	v_fma_f32 v1, v32, v93, -v33
	v_mul_f32_e32 v33, v35, v94
	v_mul_f32_e32 v32, v35, v95
	;; [unrolled: 1-line block ×5, first 2 shown]
	v_fma_f32 v33, v34, v95, -v33
	v_mul_f32_e32 v17, v17, v118
	v_mul_f32_e32 v95, v19, v109
	;; [unrolled: 1-line block ×4, first 2 shown]
	v_fmac_f32_e32 v35, v28, v104
	v_fma_f32 v28, v28, v105, -v29
	v_mul_f32_e32 v29, v31, v106
	v_mul_f32_e32 v38, v27, v3
	;; [unrolled: 1-line block ×4, first 2 shown]
	v_fmac_f32_e32 v89, v22, v96
	v_fmac_f32_e32 v92, v16, v118
	v_mul_f32_e32 v96, v13, v113
	v_mul_f32_e32 v13, v13, v112
	v_fma_f32 v16, v16, v119, -v17
	v_fmac_f32_e32 v95, v18, v108
	v_fma_f32 v17, v18, v109, -v19
	v_mul_f32_e32 v18, v9, v117
	v_mul_f32_e32 v9, v9, v116
	v_fmac_f32_e32 v37, v30, v106
	v_fma_f32 v29, v30, v107, -v29
	v_fmac_f32_e32 v38, v26, v2
	v_fma_f32 v2, v26, v3, -v27
	v_mul_f32_e32 v3, v21, v115
	v_mul_f32_e32 v21, v21, v114
	v_fmac_f32_e32 v96, v12, v112
	v_fma_f32 v12, v12, v113, -v13
	v_mul_f32_e32 v13, v15, v91
	v_mul_f32_e32 v15, v15, v90
	;; [unrolled: 1-line block ×3, first 2 shown]
	v_fmac_f32_e32 v18, v8, v116
	v_fma_f32 v8, v8, v117, -v9
	v_mul_f32_e32 v9, v11, v102
	v_mul_f32_e32 v11, v5, v121
	;; [unrolled: 1-line block ×3, first 2 shown]
	v_fmac_f32_e32 v32, v34, v94
	v_mul_f32_e32 v34, v25, v111
	v_mul_f32_e32 v25, v25, v110
	v_fma_f32 v93, v20, v115, -v21
	v_fma_f32 v94, v22, v97, -v23
	v_fmac_f32_e32 v13, v14, v90
	v_fma_f32 v14, v14, v91, -v15
	v_fmac_f32_e32 v19, v10, v102
	v_mul_f32_e32 v15, v7, v81
	v_mul_f32_e32 v7, v7, v80
	v_fma_f32 v9, v10, v103, -v9
	v_fmac_f32_e32 v11, v4, v120
	v_fma_f32 v10, v4, v121, -v5
	v_add_f32_e32 v4, v122, v37
	v_add_f32_e32 v5, v36, v29
	;; [unrolled: 1-line block ×4, first 2 shown]
	v_fmac_f32_e32 v34, v24, v110
	v_fma_f32 v39, v24, v111, -v25
	v_fmac_f32_e32 v3, v20, v114
	v_fmac_f32_e32 v15, v6, v80
	v_fma_f32 v6, v6, v81, -v7
	v_sub_f32_e32 v7, v122, v37
	v_sub_f32_e32 v20, v36, v29
	;; [unrolled: 1-line block ×4, first 2 shown]
	v_add_f32_e32 v24, v123, v32
	v_add_f32_e32 v25, v1, v33
	v_sub_f32_e32 v26, v32, v123
	v_sub_f32_e32 v1, v33, v1
	v_add_f32_e32 v27, v21, v4
	v_add_f32_e32 v28, v22, v5
	v_sub_f32_e32 v29, v21, v4
	v_sub_f32_e32 v30, v22, v5
	;; [unrolled: 1-line block ×6, first 2 shown]
	v_add_f32_e32 v21, v26, v23
	v_add_f32_e32 v32, v1, v0
	v_sub_f32_e32 v33, v26, v23
	v_sub_f32_e32 v35, v1, v0
	;; [unrolled: 1-line block ×3, first 2 shown]
	v_add_f32_e32 v24, v24, v27
	v_add_f32_e32 v25, v25, v28
	v_sub_f32_e32 v0, v0, v20
	v_sub_f32_e32 v26, v7, v26
	;; [unrolled: 1-line block ×3, first 2 shown]
	v_add_f32_e32 v7, v21, v7
	v_add_f32_e32 v27, v32, v20
	;; [unrolled: 1-line block ×4, first 2 shown]
	v_mul_f32_e32 v4, 0x3f4a47b2, v4
	v_mul_f32_e32 v5, 0x3f4a47b2, v5
	v_mul_f32_e32 v28, 0x3d64c772, v31
	v_mul_f32_e32 v32, 0x3d64c772, v22
	v_mul_f32_e32 v33, 0x3f08b237, v33
	v_mul_f32_e32 v35, 0x3f08b237, v35
	v_mul_f32_e32 v36, 0xbf5ff5aa, v23
	v_mul_f32_e32 v37, 0xbf5ff5aa, v0
	v_fmamk_f32 v24, v24, 0xbf955555, v20
	v_fmamk_f32 v25, v25, 0xbf955555, v21
	v_fmamk_f32 v31, v31, 0x3d64c772, v4
	v_fmamk_f32 v22, v22, 0x3d64c772, v5
	v_fma_f32 v28, 0x3f3bfb3b, v29, -v28
	v_fma_f32 v32, 0x3f3bfb3b, v30, -v32
	v_fma_f32 v4, 0xbf3bfb3b, v29, -v4
	v_fma_f32 v5, 0xbf3bfb3b, v30, -v5
	v_fmamk_f32 v80, v26, 0xbeae86e6, v33
	v_fmamk_f32 v81, v1, 0xbeae86e6, v35
	v_fma_f32 v29, 0xbf5ff5aa, v23, -v33
	v_fma_f32 v0, 0xbf5ff5aa, v0, -v35
	;; [unrolled: 1-line block ×4, first 2 shown]
	v_add_f32_e32 v28, v28, v24
	v_add_f32_e32 v30, v32, v25
	;; [unrolled: 1-line block ×4, first 2 shown]
	v_fmac_f32_e32 v29, 0xbee1c552, v7
	v_fmac_f32_e32 v1, 0xbee1c552, v27
	;; [unrolled: 1-line block ×4, first 2 shown]
	v_add_f32_e32 v35, v31, v24
	v_add_f32_e32 v36, v22, v25
	v_fmac_f32_e32 v80, 0xbee1c552, v7
	v_fmac_f32_e32 v81, 0xbee1c552, v27
	v_add_f32_e32 v24, v1, v4
	v_sub_f32_e32 v25, v5, v33
	v_sub_f32_e32 v26, v28, v0
	v_add_f32_e32 v27, v29, v30
	v_add_f32_e32 v28, v0, v28
	v_sub_f32_e32 v29, v30, v29
	v_sub_f32_e32 v30, v4, v1
	v_add_f32_e32 v31, v33, v5
	v_add_f32_e32 v0, v34, v95
	;; [unrolled: 1-line block ×3, first 2 shown]
	v_sub_f32_e32 v5, v39, v17
	v_add_f32_e32 v7, v38, v92
	v_add_f32_e32 v17, v2, v16
	;; [unrolled: 1-line block ×3, first 2 shown]
	v_sub_f32_e32 v23, v36, v80
	v_sub_f32_e32 v32, v35, v81
	v_add_f32_e32 v33, v80, v36
	v_sub_f32_e32 v4, v34, v95
	v_sub_f32_e32 v34, v38, v92
	;; [unrolled: 1-line block ×3, first 2 shown]
	v_add_f32_e32 v16, v3, v89
	v_add_f32_e32 v35, v93, v94
	v_sub_f32_e32 v3, v89, v3
	v_sub_f32_e32 v36, v94, v93
	v_add_f32_e32 v37, v7, v0
	v_add_f32_e32 v38, v17, v1
	v_sub_f32_e32 v39, v7, v0
	v_sub_f32_e32 v80, v17, v1
	;; [unrolled: 1-line block ×5, first 2 shown]
	v_add_f32_e32 v88, v36, v2
	v_sub_f32_e32 v89, v3, v34
	v_sub_f32_e32 v90, v36, v2
	v_add_f32_e32 v16, v16, v37
	v_add_f32_e32 v37, v35, v38
	v_sub_f32_e32 v2, v2, v5
	v_sub_f32_e32 v17, v35, v17
	v_add_f32_e32 v81, v3, v34
	v_sub_f32_e32 v3, v4, v3
	v_sub_f32_e32 v36, v5, v36
	;; [unrolled: 1-line block ×3, first 2 shown]
	v_add_f32_e32 v5, v88, v5
	v_add_f32_e32 v34, v100, v16
	;; [unrolled: 1-line block ×3, first 2 shown]
	v_mul_f32_e32 v0, 0x3f4a47b2, v0
	v_mul_f32_e32 v1, 0x3f4a47b2, v1
	;; [unrolled: 1-line block ×6, first 2 shown]
	v_add_f32_e32 v4, v81, v4
	v_mul_f32_e32 v81, 0x3d64c772, v17
	v_mul_f32_e32 v90, 0xbf5ff5aa, v91
	v_fmamk_f32 v16, v16, 0xbf955555, v34
	v_fmamk_f32 v37, v37, 0xbf955555, v35
	;; [unrolled: 1-line block ×4, first 2 shown]
	v_fma_f32 v38, 0x3f3bfb3b, v39, -v38
	v_fma_f32 v0, 0xbf3bfb3b, v39, -v0
	v_fmamk_f32 v93, v3, 0xbeae86e6, v88
	v_fmamk_f32 v94, v36, 0xbeae86e6, v89
	v_fma_f32 v2, 0xbf5ff5aa, v2, -v89
	v_fma_f32 v89, 0x3eae86e6, v36, -v92
	;; [unrolled: 1-line block ×6, first 2 shown]
	v_add_f32_e32 v7, v7, v16
	v_add_f32_e32 v17, v17, v37
	;; [unrolled: 1-line block ×4, first 2 shown]
	v_fmac_f32_e32 v93, 0xbee1c552, v4
	v_fmac_f32_e32 v94, 0xbee1c552, v5
	;; [unrolled: 1-line block ×4, first 2 shown]
	v_add_f32_e32 v91, v81, v37
	v_add_f32_e32 v92, v1, v37
	v_fmac_f32_e32 v88, 0xbee1c552, v4
	v_fmac_f32_e32 v3, 0xbee1c552, v4
	v_add_f32_e32 v36, v94, v7
	v_sub_f32_e32 v37, v17, v93
	v_add_f32_e32 v38, v89, v16
	v_sub_f32_e32 v80, v90, v2
	;; [unrolled: 2-line block ×3, first 2 shown]
	v_sub_f32_e32 v4, v7, v94
	v_add_f32_e32 v5, v93, v17
	v_add_f32_e32 v7, v96, v15
	;; [unrolled: 1-line block ×3, first 2 shown]
	v_sub_f32_e32 v6, v12, v6
	v_add_f32_e32 v12, v13, v11
	v_add_f32_e32 v17, v14, v10
	v_sub_f32_e32 v11, v13, v11
	v_sub_f32_e32 v10, v14, v10
	v_add_f32_e32 v13, v18, v19
	v_add_f32_e32 v14, v8, v9
	v_sub_f32_e32 v18, v19, v18
	v_sub_f32_e32 v8, v9, v8
	v_add_f32_e32 v9, v12, v7
	v_add_f32_e32 v19, v17, v16
	v_sub_f32_e32 v15, v96, v15
	v_sub_f32_e32 v39, v92, v3
	v_add_f32_e32 v81, v88, v91
	v_sub_f32_e32 v1, v91, v88
	v_add_f32_e32 v3, v3, v92
	v_sub_f32_e32 v88, v12, v7
	v_sub_f32_e32 v89, v17, v16
	;; [unrolled: 1-line block ×6, first 2 shown]
	v_add_f32_e32 v7, v18, v11
	v_add_f32_e32 v91, v8, v10
	v_sub_f32_e32 v92, v18, v11
	v_add_f32_e32 v9, v13, v9
	v_add_f32_e32 v13, v14, v19
	v_sub_f32_e32 v93, v8, v10
	v_sub_f32_e32 v11, v11, v15
	;; [unrolled: 1-line block ×5, first 2 shown]
	v_add_f32_e32 v14, v7, v15
	v_add_f32_e32 v15, v91, v6
	;; [unrolled: 1-line block ×4, first 2 shown]
	v_mul_f32_e32 v19, 0x3f4a47b2, v90
	v_mul_f32_e32 v16, 0x3f4a47b2, v16
	;; [unrolled: 1-line block ×8, first 2 shown]
	v_fmamk_f32 v9, v9, 0xbf955555, v6
	v_fmamk_f32 v13, v13, 0xbf955555, v7
	;; [unrolled: 1-line block ×4, first 2 shown]
	v_fma_f32 v86, 0x3f3bfb3b, v88, -v86
	v_fma_f32 v87, 0x3f3bfb3b, v89, -v87
	;; [unrolled: 1-line block ×3, first 2 shown]
	v_fmamk_f32 v88, v18, 0xbeae86e6, v90
	v_fma_f32 v90, 0xbf5ff5aa, v11, -v90
	v_fma_f32 v16, 0xbf3bfb3b, v89, -v16
	v_fmamk_f32 v89, v8, 0xbeae86e6, v91
	v_fma_f32 v91, 0xbf5ff5aa, v10, -v91
	v_fma_f32 v18, 0x3eae86e6, v18, -v92
	;; [unrolled: 1-line block ×3, first 2 shown]
	v_add_f32_e32 v94, v17, v13
	v_add_f32_e32 v17, v86, v9
	;; [unrolled: 1-line block ×3, first 2 shown]
	v_fmac_f32_e32 v90, 0xbee1c552, v14
	v_add_f32_e32 v93, v12, v9
	v_add_f32_e32 v19, v19, v9
	;; [unrolled: 1-line block ×3, first 2 shown]
	v_fmac_f32_e32 v88, 0xbee1c552, v14
	v_fmac_f32_e32 v89, 0xbee1c552, v15
	;; [unrolled: 1-line block ×5, first 2 shown]
	v_add_f32_e32 v13, v90, v86
	v_sub_f32_e32 v15, v86, v90
	v_add_nc_u32_e32 v86, 0xc00, v175
	v_add_f32_e32 v8, v89, v93
	v_sub_f32_e32 v9, v94, v88
	v_add_f32_e32 v10, v92, v19
	v_sub_f32_e32 v11, v87, v18
	v_sub_f32_e32 v12, v17, v91
	v_add_f32_e32 v14, v91, v17
	v_sub_f32_e32 v16, v19, v92
	v_add_f32_e32 v17, v18, v87
	;; [unrolled: 2-line block ×3, first 2 shown]
	ds_write2_b64 v208, v[20:21], v[22:23] offset1:12
	ds_write2_b64 v208, v[24:25], v[26:27] offset0:24 offset1:36
	ds_write2_b64 v208, v[28:29], v[30:31] offset0:48 offset1:60
	ds_write_b64 v208, v[32:33] offset:576
	ds_write2_b64 v207, v[34:35], v[36:37] offset1:12
	ds_write2_b64 v207, v[38:39], v[80:81] offset0:24 offset1:36
	ds_write2_b64 v207, v[0:1], v[2:3] offset0:48 offset1:60
	ds_write_b64 v207, v[4:5] offset:576
	ds_write2_b64 v206, v[6:7], v[8:9] offset1:12
	ds_write2_b64 v206, v[10:11], v[12:13] offset0:24 offset1:36
	ds_write2_b64 v206, v[14:15], v[16:17] offset0:48 offset1:60
	ds_write_b64 v206, v[18:19] offset:576
	s_waitcnt lgkmcnt(0)
	s_barrier
	buffer_gl0_inv
	ds_read2_b64 v[20:23], v175 offset1:84
	ds_read2_b64 v[36:39], v175 offset0:168 offset1:252
	ds_read2_b64 v[32:35], v85 offset0:80 offset1:164
	;; [unrolled: 1-line block ×4, first 2 shown]
	ds_read_b64 v[80:81], v175 offset:6720
	s_and_saveexec_b32 s1, s0
	s_cbranch_execz .LBB0_27
; %bb.26:
	v_add_nc_u32_e32 v4, 0x400, v175
	v_add_nc_u32_e32 v16, 0x1400, v175
	ds_read2_b64 v[0:3], v175 offset0:44 offset1:128
	ds_read2_b64 v[8:11], v85 offset0:124 offset1:208
	;; [unrolled: 1-line block ×5, first 2 shown]
	ds_read_b64 v[82:83], v175 offset:7072
.LBB0_27:
	s_or_b32 exec_lo, exec_lo, s1
	s_waitcnt lgkmcnt(4)
	v_mul_f32_e32 v88, v43, v37
	v_mul_f32_e32 v87, v41, v23
	;; [unrolled: 1-line block ×4, first 2 shown]
	v_fmac_f32_e32 v88, v42, v36
	v_mul_f32_e32 v36, v53, v39
	v_fmac_f32_e32 v87, v40, v22
	v_fma_f32 v22, v40, v23, -v41
	v_mul_f32_e32 v23, v53, v38
	s_waitcnt lgkmcnt(3)
	v_mul_f32_e32 v40, v55, v33
	v_mul_f32_e32 v41, v55, v32
	v_fmac_f32_e32 v36, v52, v38
	v_mul_f32_e32 v38, v49, v35
	v_fma_f32 v37, v42, v37, -v43
	v_fma_f32 v39, v52, v39, -v23
	v_fmac_f32_e32 v40, v54, v32
	v_fma_f32 v32, v54, v33, -v41
	v_mul_f32_e32 v23, v49, v34
	v_fmac_f32_e32 v38, v48, v34
	s_waitcnt lgkmcnt(2)
	v_mul_f32_e32 v33, v51, v29
	v_add_f32_e32 v34, v20, v87
	v_add_f32_e32 v41, v21, v22
	v_fma_f32 v35, v48, v35, -v23
	v_mul_f32_e32 v23, v51, v28
	v_fmac_f32_e32 v33, v50, v28
	v_add_f32_e32 v28, v34, v88
	v_add_f32_e32 v34, v41, v37
	v_mul_f32_e32 v41, v45, v31
	v_fma_f32 v29, v50, v29, -v23
	v_mul_f32_e32 v23, v45, v30
	v_add_f32_e32 v28, v28, v36
	v_add_f32_e32 v34, v34, v39
	v_fmac_f32_e32 v41, v44, v30
	s_waitcnt lgkmcnt(1)
	v_mul_f32_e32 v30, v47, v25
	v_fma_f32 v31, v44, v31, -v23
	v_add_f32_e32 v23, v28, v40
	v_add_f32_e32 v28, v34, v32
	v_mul_f32_e32 v34, v47, v24
	v_fmac_f32_e32 v30, v46, v24
	v_mul_f32_e32 v24, v77, v27
	v_add_f32_e32 v23, v23, v38
	v_add_f32_e32 v28, v28, v35
	v_fma_f32 v25, v46, v25, -v34
	s_waitcnt lgkmcnt(0)
	v_mul_f32_e32 v34, v79, v80
	v_mul_f32_e32 v42, v79, v81
	v_add_f32_e32 v23, v23, v33
	v_add_f32_e32 v28, v28, v29
	v_fmac_f32_e32 v24, v76, v26
	v_fma_f32 v34, v78, v81, -v34
	v_mul_f32_e32 v26, v77, v26
	v_add_f32_e32 v23, v23, v41
	v_add_f32_e32 v28, v28, v31
	v_fmac_f32_e32 v42, v78, v80
	v_sub_f32_e32 v43, v22, v34
	v_fma_f32 v26, v76, v27, -v26
	v_add_f32_e32 v23, v23, v30
	v_add_f32_e32 v27, v28, v25
	v_add_f32_e32 v28, v87, v42
	v_mul_f32_e32 v44, 0xbf0a6770, v43
	v_add_f32_e32 v45, v22, v34
	v_add_f32_e32 v22, v23, v24
	;; [unrolled: 1-line block ×3, first 2 shown]
	v_sub_f32_e32 v27, v87, v42
	v_fmamk_f32 v46, v28, 0x3f575c64, v44
	v_mul_f32_e32 v47, 0x3f575c64, v45
	v_mul_f32_e32 v48, 0x3ed4b147, v45
	v_add_f32_e32 v23, v23, v34
	v_mul_f32_e32 v51, 0xbf7d64f0, v43
	v_add_f32_e32 v34, v20, v46
	v_mul_f32_e32 v46, 0xbf68dda4, v43
	v_mul_f32_e32 v53, 0xbe11bafb, v45
	;; [unrolled: 1-line block ×6, first 2 shown]
	v_sub_f32_e32 v81, v37, v26
	v_add_f32_e32 v26, v37, v26
	v_add_f32_e32 v22, v22, v42
	v_fmamk_f32 v42, v27, 0x3f0a6770, v47
	v_fma_f32 v44, 0x3f575c64, v28, -v44
	v_fmac_f32_e32 v47, 0xbf0a6770, v27
	v_fmamk_f32 v49, v28, 0x3ed4b147, v46
	v_fmamk_f32 v50, v27, 0x3f68dda4, v48
	v_fma_f32 v46, 0x3ed4b147, v28, -v46
	v_fmac_f32_e32 v48, 0xbf68dda4, v27
	v_fmamk_f32 v52, v28, 0xbe11bafb, v51
	;; [unrolled: 4-line block ×4, first 2 shown]
	v_fmamk_f32 v80, v27, 0x3e903f40, v45
	v_add_f32_e32 v87, v88, v24
	v_mul_f32_e32 v37, 0xbf68dda4, v81
	v_fma_f32 v28, 0xbf75a155, v28, -v43
	v_fmac_f32_e32 v45, 0xbe903f40, v27
	v_sub_f32_e32 v24, v88, v24
	v_mul_f32_e32 v27, 0x3ed4b147, v26
	v_add_f32_e32 v42, v21, v42
	v_add_f32_e32 v44, v20, v44
	v_add_f32_e32 v47, v21, v47
	v_add_f32_e32 v49, v20, v49
	v_add_f32_e32 v50, v21, v50
	v_add_f32_e32 v46, v20, v46
	v_add_f32_e32 v48, v21, v48
	v_add_f32_e32 v52, v20, v52
	v_add_f32_e32 v55, v21, v55
	v_add_f32_e32 v51, v20, v51
	v_add_f32_e32 v53, v21, v53
	v_add_f32_e32 v76, v20, v76
	v_add_f32_e32 v78, v21, v78
	v_add_f32_e32 v54, v20, v54
	v_add_f32_e32 v77, v21, v77
	v_add_f32_e32 v79, v20, v79
	v_add_f32_e32 v80, v21, v80
	v_fmamk_f32 v43, v87, 0x3ed4b147, v37
	v_add_f32_e32 v20, v20, v28
	v_add_f32_e32 v21, v21, v45
	v_mul_f32_e32 v28, 0xbf4178ce, v81
	v_fmamk_f32 v45, v24, 0x3f68dda4, v27
	v_add_f32_e32 v34, v43, v34
	v_fma_f32 v37, 0x3ed4b147, v87, -v37
	v_fmac_f32_e32 v27, 0xbf68dda4, v24
	v_fmamk_f32 v43, v87, 0xbf27a4f4, v28
	v_add_f32_e32 v42, v45, v42
	v_mul_f32_e32 v45, 0xbf27a4f4, v26
	v_add_f32_e32 v37, v37, v44
	v_add_f32_e32 v27, v27, v47
	;; [unrolled: 1-line block ×3, first 2 shown]
	v_mul_f32_e32 v44, 0x3e903f40, v81
	v_fmamk_f32 v47, v24, 0x3f4178ce, v45
	v_fma_f32 v28, 0xbf27a4f4, v87, -v28
	v_mul_f32_e32 v49, 0xbf75a155, v26
	v_fmac_f32_e32 v45, 0xbf4178ce, v24
	v_fmamk_f32 v88, v87, 0xbf75a155, v44
	v_add_f32_e32 v47, v47, v50
	v_add_f32_e32 v28, v28, v46
	v_fmamk_f32 v46, v24, 0xbe903f40, v49
	v_mul_f32_e32 v50, 0x3f7d64f0, v81
	v_fma_f32 v44, 0xbf75a155, v87, -v44
	v_add_f32_e32 v45, v45, v48
	v_add_f32_e32 v48, v88, v52
	;; [unrolled: 1-line block ×3, first 2 shown]
	v_fmamk_f32 v55, v87, 0xbe11bafb, v50
	v_add_f32_e32 v44, v44, v51
	v_mul_f32_e32 v51, 0x3f0a6770, v81
	v_fmac_f32_e32 v49, 0x3e903f40, v24
	v_mul_f32_e32 v52, 0xbe11bafb, v26
	v_add_f32_e32 v55, v55, v76
	v_fma_f32 v50, 0xbe11bafb, v87, -v50
	v_fmamk_f32 v76, v87, 0x3f575c64, v51
	v_add_f32_e32 v49, v49, v53
	v_fmamk_f32 v53, v24, 0xbf7d64f0, v52
	v_fmac_f32_e32 v52, 0x3f7d64f0, v24
	v_mul_f32_e32 v26, 0x3f575c64, v26
	v_add_f32_e32 v50, v50, v54
	v_add_f32_e32 v54, v76, v79
	v_sub_f32_e32 v76, v39, v25
	v_add_f32_e32 v25, v39, v25
	v_add_f32_e32 v53, v53, v78
	;; [unrolled: 1-line block ×3, first 2 shown]
	v_fmamk_f32 v77, v24, 0xbf0a6770, v26
	v_fma_f32 v51, 0x3f575c64, v87, -v51
	v_add_f32_e32 v39, v36, v30
	v_mul_f32_e32 v78, 0xbf7d64f0, v76
	v_fmac_f32_e32 v26, 0x3f0a6770, v24
	v_sub_f32_e32 v24, v36, v30
	v_mul_f32_e32 v30, 0xbe11bafb, v25
	v_add_f32_e32 v36, v77, v80
	v_fmamk_f32 v77, v39, 0xbe11bafb, v78
	v_add_f32_e32 v20, v51, v20
	v_add_f32_e32 v21, v26, v21
	v_fmamk_f32 v26, v24, 0x3f7d64f0, v30
	v_mul_f32_e32 v51, 0x3e903f40, v76
	v_fmac_f32_e32 v30, 0xbf7d64f0, v24
	v_add_f32_e32 v34, v77, v34
	v_fma_f32 v77, 0xbe11bafb, v39, -v78
	v_add_f32_e32 v26, v26, v42
	v_fmamk_f32 v42, v39, 0xbf75a155, v51
	v_mul_f32_e32 v78, 0xbf75a155, v25
	v_add_f32_e32 v27, v30, v27
	v_mul_f32_e32 v30, 0x3f68dda4, v76
	v_add_f32_e32 v37, v77, v37
	v_add_f32_e32 v42, v42, v43
	v_fmamk_f32 v43, v24, 0xbe903f40, v78
	v_fma_f32 v51, 0xbf75a155, v39, -v51
	v_fmamk_f32 v77, v39, 0x3ed4b147, v30
	v_mul_f32_e32 v79, 0x3ed4b147, v25
	v_fma_f32 v30, 0x3ed4b147, v39, -v30
	v_add_f32_e32 v43, v43, v47
	v_add_f32_e32 v28, v51, v28
	;; [unrolled: 1-line block ×3, first 2 shown]
	v_fmamk_f32 v48, v24, 0xbf68dda4, v79
	v_mul_f32_e32 v51, 0xbf0a6770, v76
	v_fmac_f32_e32 v79, 0x3f68dda4, v24
	v_mul_f32_e32 v77, 0x3f575c64, v25
	v_add_f32_e32 v30, v30, v44
	v_add_f32_e32 v46, v48, v46
	v_fmamk_f32 v48, v39, 0x3f575c64, v51
	v_add_f32_e32 v44, v79, v49
	v_fmamk_f32 v49, v24, 0x3f0a6770, v77
	v_mul_f32_e32 v76, 0xbf4178ce, v76
	v_fma_f32 v51, 0x3f575c64, v39, -v51
	v_fmac_f32_e32 v77, 0xbf0a6770, v24
	v_mul_f32_e32 v25, 0xbf27a4f4, v25
	v_add_f32_e32 v49, v49, v53
	v_fmamk_f32 v53, v39, 0xbf27a4f4, v76
	v_add_f32_e32 v50, v51, v50
	v_add_f32_e32 v51, v77, v52
	v_sub_f32_e32 v52, v32, v31
	v_add_f32_e32 v31, v32, v31
	v_fmac_f32_e32 v78, 0x3e903f40, v24
	v_add_f32_e32 v48, v48, v55
	v_add_f32_e32 v53, v53, v54
	v_fmamk_f32 v54, v24, 0x3f4178ce, v25
	v_add_f32_e32 v55, v40, v41
	v_fmac_f32_e32 v25, 0xbf4178ce, v24
	v_sub_f32_e32 v24, v40, v41
	v_mul_f32_e32 v40, 0xbf27a4f4, v31
	v_mul_f32_e32 v32, 0xbf4178ce, v52
	v_fma_f32 v39, 0xbf27a4f4, v39, -v76
	v_add_f32_e32 v21, v25, v21
	v_add_f32_e32 v45, v78, v45
	v_fmamk_f32 v25, v24, 0x3f4178ce, v40
	v_fmamk_f32 v41, v55, 0xbf27a4f4, v32
	v_add_f32_e32 v20, v39, v20
	v_mul_f32_e32 v39, 0x3f7d64f0, v52
	v_fma_f32 v32, 0xbf27a4f4, v55, -v32
	v_fmac_f32_e32 v40, 0xbf4178ce, v24
	v_add_f32_e32 v25, v25, v26
	v_mul_f32_e32 v26, 0xbe11bafb, v31
	v_add_f32_e32 v34, v41, v34
	v_fmamk_f32 v41, v55, 0xbe11bafb, v39
	v_add_f32_e32 v32, v32, v37
	v_add_f32_e32 v27, v40, v27
	v_mul_f32_e32 v37, 0xbf0a6770, v52
	v_fmamk_f32 v40, v24, 0xbf7d64f0, v26
	v_add_f32_e32 v41, v41, v42
	v_fma_f32 v39, 0xbe11bafb, v55, -v39
	v_fmac_f32_e32 v26, 0x3f7d64f0, v24
	v_fmamk_f32 v42, v55, 0x3f575c64, v37
	v_add_f32_e32 v40, v40, v43
	v_mul_f32_e32 v43, 0x3f575c64, v31
	v_add_f32_e32 v28, v39, v28
	v_add_f32_e32 v39, v26, v45
	;; [unrolled: 1-line block ×3, first 2 shown]
	v_mul_f32_e32 v26, 0xbe903f40, v52
	v_fmamk_f32 v45, v24, 0x3f0a6770, v43
	v_fma_f32 v37, 0x3f575c64, v55, -v37
	v_mul_f32_e32 v47, 0xbf75a155, v31
	v_add_f32_e32 v36, v54, v36
	v_fmac_f32_e32 v43, 0xbf0a6770, v24
	v_fmamk_f32 v54, v55, 0xbf75a155, v26
	v_add_f32_e32 v45, v45, v46
	v_add_f32_e32 v37, v37, v30
	v_fmamk_f32 v30, v24, 0x3e903f40, v47
	v_mul_f32_e32 v46, 0x3f68dda4, v52
	v_add_f32_e32 v43, v43, v44
	v_add_f32_e32 v44, v54, v48
	v_mul_f32_e32 v31, 0x3ed4b147, v31
	v_fma_f32 v26, 0xbf75a155, v55, -v26
	v_add_f32_e32 v48, v30, v49
	v_fmac_f32_e32 v47, 0xbe903f40, v24
	v_fmamk_f32 v30, v55, 0x3ed4b147, v46
	v_sub_f32_e32 v52, v35, v29
	v_add_f32_e32 v35, v35, v29
	v_fmamk_f32 v49, v24, 0xbf68dda4, v31
	v_add_f32_e32 v50, v26, v50
	v_add_f32_e32 v47, v47, v51
	;; [unrolled: 1-line block ×4, first 2 shown]
	v_mul_f32_e32 v26, 0xbe903f40, v52
	v_fma_f32 v29, 0x3ed4b147, v55, -v46
	v_fmac_f32_e32 v31, 0x3f68dda4, v24
	v_sub_f32_e32 v33, v38, v33
	v_mul_f32_e32 v30, 0xbf75a155, v35
	v_fmamk_f32 v24, v53, 0xbf75a155, v26
	v_add_f32_e32 v46, v29, v20
	v_add_f32_e32 v54, v31, v21
	v_mul_f32_e32 v29, 0x3f0a6770, v52
	v_fmamk_f32 v21, v33, 0x3e903f40, v30
	v_fmac_f32_e32 v30, 0xbe903f40, v33
	v_mul_f32_e32 v31, 0x3f575c64, v35
	v_add_f32_e32 v20, v24, v34
	v_fma_f32 v24, 0xbf75a155, v53, -v26
	v_fmamk_f32 v26, v53, 0x3f575c64, v29
	v_add_f32_e32 v21, v21, v25
	v_add_f32_e32 v25, v30, v27
	v_fmamk_f32 v27, v33, 0xbf0a6770, v31
	v_fma_f32 v29, 0x3f575c64, v53, -v29
	v_mul_f32_e32 v30, 0xbf4178ce, v52
	v_fmac_f32_e32 v31, 0x3f0a6770, v33
	v_mul_f32_e32 v34, 0x3f68dda4, v52
	v_add_f32_e32 v49, v49, v36
	v_add_f32_e32 v24, v24, v32
	;; [unrolled: 1-line block ×3, first 2 shown]
	v_fmamk_f32 v32, v53, 0xbf27a4f4, v30
	v_add_f32_e32 v29, v31, v39
	v_fma_f32 v36, 0xbf27a4f4, v53, -v30
	v_fmamk_f32 v39, v53, 0x3ed4b147, v34
	v_mul_f32_e32 v55, 0xbf27a4f4, v35
	v_add_f32_e32 v26, v26, v41
	v_add_f32_e32 v30, v32, v42
	v_mul_f32_e32 v38, 0x3ed4b147, v35
	v_add_f32_e32 v32, v36, v37
	v_fma_f32 v37, 0x3ed4b147, v53, -v34
	v_add_f32_e32 v34, v39, v44
	v_mul_f32_e32 v39, 0xbf7d64f0, v52
	v_mul_f32_e32 v41, 0xbe11bafb, v35
	v_fmamk_f32 v31, v33, 0x3f4178ce, v55
	v_add_f32_e32 v27, v27, v40
	v_fmamk_f32 v36, v33, 0xbf68dda4, v38
	v_fmac_f32_e32 v38, 0x3f68dda4, v33
	v_fmamk_f32 v40, v53, 0xbe11bafb, v39
	v_fmamk_f32 v42, v33, 0x3f7d64f0, v41
	v_fma_f32 v44, 0xbe11bafb, v53, -v39
	v_fmac_f32_e32 v41, 0xbf7d64f0, v33
	v_fmac_f32_e32 v55, 0xbf4178ce, v33
	v_add_f32_e32 v31, v31, v45
	v_add_f32_e32 v35, v36, v48
	;; [unrolled: 1-line block ×9, first 2 shown]
	ds_write2_b64 v175, v[22:23], v[20:21] offset1:84
	ds_write2_b64 v175, v[26:27], v[30:31] offset0:168 offset1:252
	ds_write2_b64 v85, v[34:35], v[38:39] offset0:80 offset1:164
	;; [unrolled: 1-line block ×4, first 2 shown]
	ds_write_b64 v175, v[24:25] offset:6720
	s_and_saveexec_b32 s1, s0
	s_cbranch_execz .LBB0_29
; %bb.28:
	v_mul_f32_e32 v20, v57, v3
	v_mul_f32_e32 v21, v75, v83
	;; [unrolled: 1-line block ×5, first 2 shown]
	v_fmac_f32_e32 v20, v56, v2
	v_fmac_f32_e32 v21, v74, v82
	v_mul_f32_e32 v25, v73, v19
	v_fma_f32 v22, v74, v83, -v22
	v_fma_f32 v23, v56, v3, -v23
	v_fmac_f32_e32 v24, v58, v4
	v_sub_f32_e32 v3, v20, v21
	v_fmac_f32_e32 v25, v72, v18
	v_mul_f32_e32 v18, v73, v18
	v_mul_f32_e32 v4, v59, v4
	;; [unrolled: 1-line block ×5, first 2 shown]
	v_add_f32_e32 v27, v22, v23
	v_sub_f32_e32 v2, v24, v25
	v_fma_f32 v18, v72, v19, -v18
	v_fma_f32 v19, v58, v5, -v4
	v_fmac_f32_e32 v30, v64, v6
	v_fmac_f32_e32 v31, v70, v16
	v_mul_f32_e32 v16, v71, v16
	v_mul_f32_e32 v6, v65, v6
	;; [unrolled: 1-line block ×4, first 2 shown]
	v_fmamk_f32 v4, v27, 0x3ed4b147, v26
	v_mul_f32_e32 v28, 0xbf4178ce, v2
	v_add_f32_e32 v29, v18, v19
	v_sub_f32_e32 v34, v30, v31
	v_fma_f32 v16, v70, v17, -v16
	v_fma_f32 v17, v64, v7, -v6
	v_fmac_f32_e32 v32, v66, v8
	v_fmac_f32_e32 v33, v68, v14
	v_mul_f32_e32 v6, v69, v14
	v_mul_f32_e32 v7, v67, v8
	v_add_f32_e32 v4, v1, v4
	v_fmamk_f32 v5, v29, 0xbf27a4f4, v28
	v_mul_f32_e32 v14, 0x3e903f40, v34
	v_add_f32_e32 v35, v16, v17
	v_sub_f32_e32 v36, v32, v33
	v_fma_f32 v37, v68, v15, -v6
	v_fma_f32 v38, v66, v9, -v7
	v_add_f32_e32 v4, v5, v4
	v_fmamk_f32 v5, v35, 0xbf75a155, v14
	v_mul_f32_e32 v15, 0x3f7d64f0, v36
	v_mul_f32_e32 v40, v61, v11
	v_add_f32_e32 v39, v37, v38
	v_mul_f32_e32 v41, v63, v13
	v_add_f32_e32 v4, v5, v4
	v_sub_f32_e32 v42, v23, v22
	v_fmac_f32_e32 v40, v60, v10
	v_fmamk_f32 v5, v39, 0xbe11bafb, v15
	v_fmac_f32_e32 v41, v62, v12
	v_mul_f32_e32 v6, v61, v10
	v_add_f32_e32 v43, v21, v20
	v_sub_f32_e32 v45, v19, v18
	v_add_f32_e32 v4, v5, v4
	v_mul_f32_e32 v5, v63, v12
	v_mul_f32_e32 v12, 0xbf68dda4, v42
	v_sub_f32_e32 v44, v40, v41
	v_fma_f32 v47, v60, v11, -v6
	v_add_f32_e32 v48, v25, v24
	v_fma_f32 v46, v62, v13, -v5
	v_fma_f32 v5, 0x3ed4b147, v43, -v12
	v_mul_f32_e32 v49, 0xbf4178ce, v45
	v_sub_f32_e32 v51, v17, v16
	v_mul_f32_e32 v50, 0x3f0a6770, v44
	v_add_f32_e32 v52, v46, v47
	v_add_f32_e32 v5, v0, v5
	v_fma_f32 v6, 0xbf27a4f4, v48, -v49
	v_add_f32_e32 v53, v31, v30
	v_mul_f32_e32 v54, 0x3e903f40, v51
	v_sub_f32_e32 v55, v38, v37
	v_fmamk_f32 v7, v52, 0x3f575c64, v50
	v_add_f32_e32 v6, v6, v5
	v_mul_f32_e32 v9, 0xbf4178ce, v3
	v_fma_f32 v8, 0xbf75a155, v53, -v54
	v_add_f32_e32 v56, v33, v32
	v_mul_f32_e32 v57, 0x3f7d64f0, v55
	v_sub_f32_e32 v58, v47, v46
	v_add_f32_e32 v5, v7, v4
	v_add_f32_e32 v4, v8, v6
	v_fmamk_f32 v6, v27, 0xbf27a4f4, v9
	v_mul_f32_e32 v8, 0x3f7d64f0, v2
	v_fma_f32 v7, 0xbe11bafb, v56, -v57
	v_add_f32_e32 v59, v41, v40
	v_mul_f32_e32 v60, 0x3f0a6770, v58
	v_add_f32_e32 v6, v1, v6
	v_fmamk_f32 v10, v29, 0xbe11bafb, v8
	v_mul_f32_e32 v11, 0xbf0a6770, v34
	v_add_f32_e32 v4, v7, v4
	v_fma_f32 v7, 0x3f575c64, v59, -v60
	v_mul_f32_e32 v13, 0xbf4178ce, v42
	v_add_f32_e32 v6, v10, v6
	v_fmamk_f32 v10, v35, 0x3f575c64, v11
	v_mul_f32_e32 v61, 0xbe903f40, v36
	v_add_f32_e32 v4, v7, v4
	v_fma_f32 v7, 0xbf27a4f4, v43, -v13
	;; [unrolled: 6-line block ×6, first 2 shown]
	v_mul_f32_e32 v72, 0xbe903f40, v42
	v_add_f32_e32 v70, v70, v6
	v_fmamk_f32 v73, v34, 0x3f4178ce, v71
	v_mul_f32_e32 v74, 0x3ed4b147, v39
	v_add_f32_e32 v6, v64, v10
	v_fmamk_f32 v10, v43, 0xbf75a155, v72
	;; [unrolled: 3-line block ×5, first 2 shown]
	v_fma_f32 v78, 0xbf27a4f4, v27, -v9
	v_add_f32_e32 v10, v76, v10
	v_fmamk_f32 v76, v53, 0xbf27a4f4, v77
	v_mul_f32_e32 v79, 0x3f68dda4, v55
	v_add_f32_e32 v9, v73, v70
	v_add_f32_e32 v70, v1, v78
	v_fma_f32 v8, 0xbe11bafb, v29, -v8
	v_add_f32_e32 v10, v76, v10
	v_fmamk_f32 v73, v56, 0x3ed4b147, v79
	v_mul_f32_e32 v76, 0xbf7d64f0, v58
	v_fmac_f32_e32 v13, 0xbf27a4f4, v43
	v_add_f32_e32 v8, v8, v70
	v_fma_f32 v11, 0x3f575c64, v35, -v11
	v_add_f32_e32 v10, v73, v10
	v_fmamk_f32 v70, v59, 0xbe11bafb, v76
	v_add_f32_e32 v13, v0, v13
	v_fmac_f32_e32 v62, 0xbe11bafb, v48
	v_add_f32_e32 v11, v11, v8
	v_fma_f32 v61, 0xbf75a155, v39, -v61
	v_add_f32_e32 v8, v70, v10
	v_mul_f32_e32 v70, 0xbe11bafb, v27
	v_add_f32_e32 v10, v62, v13
	v_fmac_f32_e32 v65, 0x3f575c64, v53
	v_add_f32_e32 v11, v61, v11
	v_fma_f32 v13, 0x3ed4b147, v52, -v63
	v_fmamk_f32 v61, v3, 0x3f7d64f0, v70
	v_mul_f32_e32 v62, 0xbf75a155, v29
	v_add_f32_e32 v10, v65, v10
	v_fmac_f32_e32 v68, 0xbf75a155, v56
	v_add_f32_e32 v11, v13, v11
	v_add_f32_e32 v13, v1, v61
	v_fmamk_f32 v61, v2, 0xbe903f40, v62
	v_mul_f32_e32 v63, 0x3ed4b147, v35
	v_add_f32_e32 v10, v68, v10
	v_fmac_f32_e32 v67, 0x3ed4b147, v59
	v_mul_f32_e32 v65, 0xbf7d64f0, v42
	v_add_f32_e32 v13, v61, v13
	v_fmamk_f32 v61, v34, 0xbf68dda4, v63
	v_mul_f32_e32 v68, 0x3f575c64, v39
	v_add_f32_e32 v10, v67, v10
	v_fmamk_f32 v67, v43, 0xbe11bafb, v65
	v_mul_f32_e32 v73, 0x3e903f40, v45
	v_add_f32_e32 v13, v61, v13
	v_fmamk_f32 v61, v36, 0x3f0a6770, v68
	v_mul_f32_e32 v78, 0xbf27a4f4, v52
	v_add_f32_e32 v67, v0, v67
	v_fmamk_f32 v80, v48, 0xbf75a155, v73
	v_mul_f32_e32 v81, 0x3f68dda4, v51
	v_fma_f32 v26, 0x3ed4b147, v27, -v26
	v_add_f32_e32 v13, v61, v13
	v_fmamk_f32 v61, v44, 0x3f4178ce, v78
	v_add_f32_e32 v67, v80, v67
	v_fmamk_f32 v80, v53, 0x3ed4b147, v81
	v_mul_f32_e32 v82, 0xbf0a6770, v55
	v_add_f32_e32 v26, v1, v26
	v_fma_f32 v28, 0xbf27a4f4, v29, -v28
	v_add_f32_e32 v13, v61, v13
	v_add_f32_e32 v61, v80, v67
	v_fmamk_f32 v67, v56, 0x3f575c64, v82
	v_mul_f32_e32 v80, 0xbf4178ce, v58
	v_fmac_f32_e32 v12, 0x3ed4b147, v43
	v_add_f32_e32 v26, v28, v26
	v_fma_f32 v14, 0xbf75a155, v35, -v14
	v_add_f32_e32 v28, v67, v61
	v_fmamk_f32 v61, v59, 0xbf27a4f4, v80
	v_add_f32_e32 v67, v0, v12
	v_fmac_f32_e32 v49, 0xbf27a4f4, v48
	v_add_f32_e32 v14, v14, v26
	v_fma_f32 v15, 0xbe11bafb, v39, -v15
	v_mul_f32_e32 v26, 0x3f575c64, v27
	v_add_f32_e32 v12, v61, v28
	v_add_f32_e32 v27, v49, v67
	v_fmac_f32_e32 v54, 0xbf75a155, v53
	v_add_f32_e32 v14, v15, v14
	v_fmamk_f32 v15, v3, 0x3f0a6770, v26
	v_mul_f32_e32 v28, 0x3ed4b147, v29
	v_fma_f32 v29, 0x3f575c64, v52, -v50
	v_add_f32_e32 v23, v23, v1
	v_add_f32_e32 v27, v54, v27
	v_fmac_f32_e32 v57, 0xbe11bafb, v56
	v_add_f32_e32 v49, v1, v15
	v_fmamk_f32 v50, v2, 0x3f68dda4, v28
	v_add_f32_e32 v15, v29, v14
	v_mul_f32_e32 v29, 0xbe11bafb, v35
	v_add_f32_e32 v19, v19, v23
	v_add_f32_e32 v14, v57, v27
	;; [unrolled: 1-line block ×3, first 2 shown]
	v_mul_f32_e32 v39, 0xbf27a4f4, v39
	v_fmamk_f32 v35, v34, 0x3f7d64f0, v29
	v_mul_f32_e32 v42, 0xbf0a6770, v42
	v_add_f32_e32 v17, v17, v19
	v_add_f32_e32 v19, v0, v20
	v_mul_f32_e32 v45, 0xbf68dda4, v45
	v_add_f32_e32 v23, v35, v27
	v_fmamk_f32 v27, v36, 0x3f4178ce, v39
	v_fmamk_f32 v35, v43, 0x3f575c64, v42
	v_add_f32_e32 v17, v38, v17
	v_add_f32_e32 v19, v24, v19
	v_mul_f32_e32 v24, 0xbf7d64f0, v51
	v_add_f32_e32 v20, v27, v23
	v_add_f32_e32 v23, v0, v35
	v_fmamk_f32 v27, v48, 0x3ed4b147, v45
	v_add_f32_e32 v17, v47, v17
	v_add_f32_e32 v19, v30, v19
	v_mul_f32_e32 v30, 0xbf4178ce, v55
	v_mul_f32_e32 v35, 0xbf75a155, v52
	v_add_f32_e32 v23, v27, v23
	v_fmamk_f32 v27, v53, 0xbe11bafb, v24
	v_add_f32_e32 v17, v46, v17
	v_add_f32_e32 v19, v32, v19
	v_mul_f32_e32 v32, 0xbe903f40, v58
	v_fmac_f32_e32 v66, 0xbe903f40, v3
	v_add_f32_e32 v23, v27, v23
	v_fmamk_f32 v27, v56, 0xbf27a4f4, v30
	v_add_f32_e32 v17, v37, v17
	v_add_f32_e32 v19, v40, v19
	v_fmamk_f32 v38, v44, 0x3e903f40, v35
	v_add_f32_e32 v40, v1, v66
	;; [unrolled: 3-line block ×3, first 2 shown]
	v_add_f32_e32 v19, v41, v19
	v_fmac_f32_e32 v69, 0x3f0a6770, v2
	v_add_f32_e32 v17, v38, v20
	v_add_f32_e32 v16, v27, v23
	;; [unrolled: 1-line block ×5, first 2 shown]
	v_fmac_f32_e32 v71, 0xbf4178ce, v34
	v_fma_f32 v27, 0xbf75a155, v43, -v72
	v_add_f32_e32 v19, v22, v18
	v_add_f32_e32 v18, v31, v20
	v_fmac_f32_e32 v74, 0x3f68dda4, v36
	v_add_f32_e32 v20, v71, v23
	v_add_f32_e32 v22, v0, v27
	v_fma_f32 v23, 0x3f575c64, v48, -v64
	v_fmac_f32_e32 v70, 0xbf7d64f0, v3
	v_add_f32_e32 v18, v25, v18
	v_add_f32_e32 v20, v74, v20
	v_fmac_f32_e32 v75, 0xbf7d64f0, v44
	v_add_f32_e32 v22, v23, v22
	v_fma_f32 v23, 0xbf27a4f4, v53, -v77
	v_add_f32_e32 v27, v1, v70
	v_fmac_f32_e32 v62, 0x3e903f40, v2
	v_add_f32_e32 v18, v21, v18
	v_add_f32_e32 v21, v75, v20
	;; [unrolled: 1-line block ×3, first 2 shown]
	v_fma_f32 v23, 0x3ed4b147, v56, -v79
	v_fmac_f32_e32 v26, 0xbf0a6770, v3
	v_fma_f32 v3, 0x3f575c64, v43, -v42
	v_add_f32_e32 v25, v62, v27
	v_fma_f32 v27, 0xbf75a155, v48, -v73
	v_add_f32_e32 v20, v23, v22
	;; [unrolled: 2-line block ×3, first 2 shown]
	v_fmac_f32_e32 v28, 0xbf68dda4, v2
	v_fma_f32 v2, 0x3ed4b147, v48, -v45
	v_fmac_f32_e32 v29, 0xbf7d64f0, v34
	v_add_f32_e32 v23, v0, v23
	v_add_f32_e32 v0, v0, v3
	;; [unrolled: 1-line block ×3, first 2 shown]
	v_fmac_f32_e32 v63, 0x3f68dda4, v34
	v_fmac_f32_e32 v39, 0xbf4178ce, v36
	v_add_f32_e32 v3, v27, v23
	v_fma_f32 v23, 0x3ed4b147, v53, -v81
	v_add_f32_e32 v0, v2, v0
	v_fma_f32 v2, 0xbe11bafb, v53, -v24
	v_add_f32_e32 v1, v29, v1
	v_add_f32_e32 v25, v63, v25
	;; [unrolled: 1-line block ×3, first 2 shown]
	v_fma_f32 v23, 0x3f575c64, v56, -v82
	v_fmac_f32_e32 v68, 0xbf0a6770, v36
	v_add_f32_e32 v0, v2, v0
	v_fma_f32 v2, 0xbf27a4f4, v56, -v30
	v_fmac_f32_e32 v60, 0x3f575c64, v59
	v_fma_f32 v22, 0xbe11bafb, v59, -v76
	v_add_f32_e32 v3, v23, v3
	v_fma_f32 v23, 0xbf27a4f4, v59, -v80
	v_add_f32_e32 v24, v39, v1
	v_fmac_f32_e32 v35, 0xbe903f40, v44
	v_add_f32_e32 v25, v68, v25
	v_fmac_f32_e32 v78, 0xbf4178ce, v44
	v_add_f32_e32 v2, v2, v0
	v_fma_f32 v26, 0xbf75a155, v59, -v32
	v_add_f32_e32 v14, v60, v14
	v_add_f32_e32 v20, v22, v20
	v_add_nc_u32_e32 v22, 0x400, v175
	v_add_f32_e32 v0, v23, v3
	v_add_nc_u32_e32 v23, 0x800, v175
	;; [unrolled: 2-line block ×4, first 2 shown]
	v_add_f32_e32 v2, v26, v2
	ds_write2_b64 v175, v[18:19], v[16:17] offset0:44 offset1:128
	ds_write2_b64 v22, v[14:15], v[12:13] offset0:84 offset1:168
	;; [unrolled: 1-line block ×5, first 2 shown]
	ds_write_b64 v175, v[2:3] offset:7072
.LBB0_29:
	s_or_b32 exec_lo, exec_lo, s1
	s_waitcnt lgkmcnt(0)
	s_barrier
	buffer_gl0_inv
	ds_read2_b64 v[0:3], v175 offset1:44
	v_add_nc_u32_e32 v40, 0x800, v175
	ds_read2_b64 v[4:7], v175 offset0:88 offset1:132
	ds_read2_b64 v[8:11], v40 offset0:206 offset1:250
	v_mad_u64_u32 v[16:17], null, s10, v146, 0
	v_mad_u64_u32 v[18:19], null, s8, v176, 0
	v_add_nc_u32_e32 v32, 0x1000, v175
	s_mov_b32 s2, 0x4046ed29
	s_mov_b32 s3, 0x3f51bb4a
	s_mul_i32 s1, s9, 0x1ce
	s_mul_hi_u32 s4, s8, 0x1ce
	s_mul_i32 s0, s8, 0x1ce
	s_mul_hi_u32 s5, s8, 0xfffffe5e
	s_add_i32 s1, s4, s1
	s_mul_i32 s12, s8, 0xfffffe5e
	s_sub_i32 s8, s5, s8
	s_waitcnt lgkmcnt(2)
	v_mul_f32_e32 v12, v154, v1
	v_mul_f32_e32 v13, v154, v0
	s_lshl_b64 s[4:5], s[0:1], 3
	s_mul_i32 s10, s9, 0xfffffe5e
	s_waitcnt lgkmcnt(1)
	v_mul_f32_e32 v29, v158, v5
	v_fmac_f32_e32 v12, v153, v0
	v_fma_f32 v1, v153, v1, -v13
	v_mov_b32_e32 v0, v17
	v_mul_f32_e32 v17, v156, v3
	s_waitcnt lgkmcnt(0)
	v_mul_f32_e32 v26, v168, v8
	v_cvt_f64_f32_e32 v[20:21], v12
	v_cvt_f64_f32_e32 v[22:23], v1
	v_mov_b32_e32 v1, v19
	v_mul_f32_e32 v19, v156, v2
	ds_read2_b64 v[12:15], v32 offset0:38 offset1:82
	v_fmac_f32_e32 v17, v155, v2
	v_fmac_f32_e32 v29, v157, v4
	v_mad_u64_u32 v[24:25], null, s11, v146, v[0:1]
	v_mul_f32_e32 v25, v168, v9
	v_fma_f32 v3, v155, v3, -v19
	v_fma_f32 v19, v167, v9, -v26
	v_mad_u64_u32 v[0:1], null, s9, v176, v[1:2]
	v_fmac_f32_e32 v25, v167, v8
	v_cvt_f64_f32_e32 v[8:9], v3
	v_cvt_f64_f32_e32 v[1:2], v17
	;; [unrolled: 1-line block ×3, first 2 shown]
	v_mul_f32_e32 v3, v158, v4
	v_cvt_f64_f32_e32 v[25:26], v25
	v_mov_b32_e32 v17, v24
	v_mov_b32_e32 v19, v0
	v_mul_f64 v[20:21], v[20:21], s[2:3]
	v_mul_f64 v[22:23], v[22:23], s[2:3]
	v_mul_f32_e32 v0, v166, v10
	s_waitcnt lgkmcnt(0)
	v_mul_f32_e32 v31, v164, v13
	v_fma_f32 v5, v157, v5, -v3
	v_lshlrev_b64 v[3:4], 3, v[16:17]
	v_mul_f32_e32 v30, v166, v11
	v_fma_f32 v34, v165, v11, -v0
	v_fmac_f32_e32 v31, v163, v12
	v_lshlrev_b64 v[16:17], 3, v[18:19]
	v_cvt_f64_f32_e32 v[18:19], v5
	v_mul_f32_e32 v33, v164, v12
	v_fmac_f32_e32 v30, v165, v10
	v_cvt_f64_f32_e32 v[10:11], v29
	s_add_i32 s13, s8, s10
	v_mul_f64 v[8:9], v[8:9], s[2:3]
	v_mul_f64 v[0:1], v[1:2], s[2:3]
	v_add_co_u32 v2, s0, s6, v3
	v_mul_f64 v[24:25], v[25:26], s[2:3]
	v_mul_f64 v[26:27], v[27:28], s[2:3]
	v_add_co_ci_u32_e64 v3, s0, s7, v4, s0
	v_cvt_f32_f64_e32 v20, v[20:21]
	v_cvt_f32_f64_e32 v21, v[22:23]
	v_cvt_f64_f32_e32 v[22:23], v34
	v_cvt_f64_f32_e32 v[4:5], v31
	v_fma_f32 v28, v163, v13, -v33
	v_cvt_f64_f32_e32 v[12:13], v30
	v_add_co_u32 v2, s0, v2, v16
	v_add_co_ci_u32_e64 v3, s0, v3, v17, s0
	v_cvt_f64_f32_e32 v[16:17], v28
	v_add_co_u32 v28, s0, v2, s4
	v_add_co_ci_u32_e64 v29, s0, s5, v3, s0
	v_cvt_f32_f64_e32 v31, v[8:9]
	v_cvt_f32_f64_e32 v30, v[0:1]
	v_mul_f64 v[10:11], v[10:11], s[2:3]
	v_cvt_f32_f64_e32 v8, v[24:25]
	v_mul_f32_e32 v24, v150, v7
	v_mul_f32_e32 v25, v150, v6
	v_cvt_f32_f64_e32 v9, v[26:27]
	v_mul_f32_e32 v26, v162, v15
	global_store_dwordx2 v[2:3], v[20:21], off
	ds_read2_b64 v[0:3], v175 offset0:176 offset1:220
	v_mul_f64 v[20:21], v[22:23], s[2:3]
	v_mul_f64 v[22:23], v[4:5], s[2:3]
	v_mul_f32_e32 v4, v162, v14
	v_fmac_f32_e32 v24, v149, v6
	v_fma_f32 v5, v149, v7, -v25
	v_fmac_f32_e32 v26, v161, v14
	v_mul_f64 v[12:13], v[12:13], s[2:3]
	v_fma_f32 v33, v161, v15, -v4
	v_cvt_f64_f32_e32 v[14:15], v24
	v_cvt_f64_f32_e32 v[24:25], v5
	ds_read2_b64 v[4:7], v32 offset0:126 offset1:170
	v_mul_f64 v[18:19], v[18:19], s[2:3]
	v_mul_f64 v[16:17], v[16:17], s[2:3]
	v_cvt_f64_f32_e32 v[32:33], v33
	v_cvt_f64_f32_e32 v[26:27], v26
	v_cvt_f32_f64_e32 v10, v[10:11]
	s_lshl_b64 s[12:13], s[12:13], 3
	v_add_co_u32 v34, s0, v28, s12
	s_waitcnt lgkmcnt(1)
	v_mul_f32_e32 v36, v148, v1
	v_mul_f32_e32 v37, v148, v0
	v_add_co_ci_u32_e64 v35, s0, s13, v29, s0
	v_fmac_f32_e32 v36, v147, v0
	v_fma_f32 v37, v147, v1, -v37
	v_add_co_u32 v0, s0, v34, s4
	v_cvt_f32_f64_e32 v12, v[12:13]
	s_waitcnt lgkmcnt(0)
	v_mul_f32_e32 v38, v160, v5
	v_cvt_f32_f64_e32 v13, v[20:21]
	v_cvt_f64_f32_e32 v[20:21], v36
	v_cvt_f64_f32_e32 v[36:37], v37
	v_cvt_f32_f64_e32 v11, v[18:19]
	v_fmac_f32_e32 v38, v159, v4
	v_mul_f32_e32 v4, v160, v4
	v_cvt_f32_f64_e32 v19, v[16:17]
	v_mul_f64 v[16:17], v[24:25], s[2:3]
	v_mul_f64 v[24:25], v[32:33], s[2:3]
	v_cvt_f32_f64_e32 v18, v[22:23]
	v_fma_f32 v32, v159, v5, -v4
	v_mul_f64 v[14:15], v[14:15], s[2:3]
	v_mul_f64 v[22:23], v[26:27], s[2:3]
	v_cvt_f64_f32_e32 v[26:27], v38
	v_add_co_ci_u32_e64 v1, s0, s5, v35, s0
	v_cvt_f64_f32_e32 v[32:33], v32
	v_add_co_u32 v4, s0, v0, s12
	v_add_co_ci_u32_e64 v5, s0, s13, v1, s0
	v_add_co_u32 v38, s0, v4, s4
	v_mul_f64 v[20:21], v[20:21], s[2:3]
	v_add_co_ci_u32_e64 v39, s0, s5, v5, s0
	v_mul_f64 v[36:37], v[36:37], s[2:3]
	global_store_dwordx2 v[28:29], v[8:9], off
	global_store_dwordx2 v[34:35], v[30:31], off
	;; [unrolled: 1-line block ×5, first 2 shown]
	v_mul_f32_e32 v0, v141, v3
	v_mul_f32_e32 v1, v141, v2
	v_cvt_f32_f64_e32 v9, v[16:17]
	v_mul_f32_e32 v4, v152, v6
	v_cvt_f32_f64_e32 v8, v[14:15]
	v_fmac_f32_e32 v0, v140, v2
	v_mul_f64 v[12:13], v[26:27], s[2:3]
	v_mul_f32_e32 v2, v152, v7
	v_cvt_f32_f64_e32 v10, v[22:23]
	v_mul_f64 v[14:15], v[32:33], s[2:3]
	v_cvt_f64_f32_e32 v[16:17], v0
	v_fma_f32 v0, v140, v3, -v1
	v_fmac_f32_e32 v2, v151, v6
	v_fma_f32 v1, v151, v7, -v4
	v_cvt_f32_f64_e32 v11, v[24:25]
	v_add_nc_u32_e32 v4, 0x1400, v175
	v_add_co_u32 v26, s0, v38, s12
	v_cvt_f32_f64_e32 v18, v[20:21]
	v_cvt_f64_f32_e32 v[20:21], v0
	v_cvt_f32_f64_e32 v19, v[36:37]
	v_cvt_f64_f32_e32 v[22:23], v2
	v_cvt_f64_f32_e32 v[24:25], v1
	ds_read2_b64 v[0:3], v40 offset0:8 offset1:52
	ds_read2_b64 v[4:7], v4 offset0:86 offset1:130
	v_add_co_ci_u32_e64 v27, s0, s13, v39, s0
	v_add_co_u32 v28, s0, v26, s4
	v_cvt_f32_f64_e32 v12, v[12:13]
	v_add_co_ci_u32_e64 v29, s0, s5, v27, s0
	v_cvt_f32_f64_e32 v13, v[14:15]
	v_mul_f64 v[14:15], v[16:17], s[2:3]
	v_add_co_u32 v16, s0, v28, s12
	global_store_dwordx2 v[26:27], v[8:9], off
	v_add_co_ci_u32_e64 v17, s0, s13, v29, s0
	global_store_dwordx2 v[28:29], v[10:11], off
	global_store_dwordx2 v[16:17], v[18:19], off
	v_mul_f64 v[8:9], v[20:21], s[2:3]
	s_waitcnt lgkmcnt(1)
	v_mul_f32_e32 v26, v145, v1
	v_add_co_u32 v10, s0, v16, s4
	v_add_co_ci_u32_e64 v11, s0, s5, v17, s0
	v_mul_f64 v[18:19], v[22:23], s[2:3]
	v_fmac_f32_e32 v26, v144, v0
	v_mul_f32_e32 v0, v145, v0
	s_waitcnt lgkmcnt(0)
	v_mul_f32_e32 v22, v143, v5
	v_mul_f32_e32 v23, v143, v4
	v_mul_f64 v[20:21], v[24:25], s[2:3]
	global_store_dwordx2 v[10:11], v[12:13], off
	v_add_nc_u32_e32 v12, 0x1800, v175
	v_fma_f32 v1, v144, v1, -v0
	v_fmac_f32_e32 v22, v142, v4
	v_fma_f32 v24, v142, v5, -v23
	v_cvt_f32_f64_e32 v0, v[14:15]
	ds_read2_b64 v[12:15], v12 offset0:46 offset1:90
	v_cvt_f64_f32_e32 v[16:17], v26
	v_cvt_f64_f32_e32 v[4:5], v1
	;; [unrolled: 1-line block ×4, first 2 shown]
	v_add_co_u32 v26, s0, v10, s12
	v_cvt_f32_f64_e32 v1, v[8:9]
	v_add_co_ci_u32_e64 v27, s0, s13, v11, s0
	ds_read2_b64 v[8:11], v40 offset0:96 offset1:140
	v_mul_f32_e32 v28, v131, v3
	v_mul_f32_e32 v29, v131, v2
	;; [unrolled: 1-line block ×4, first 2 shown]
	v_cvt_f32_f64_e32 v18, v[18:19]
	v_fmac_f32_e32 v28, v130, v2
	v_fma_f32 v29, v130, v3, -v29
	v_fmac_f32_e32 v30, v134, v6
	v_fma_f32 v31, v134, v7, -v31
	s_waitcnt lgkmcnt(1)
	v_mul_f32_e32 v34, v129, v13
	v_cvt_f32_f64_e32 v19, v[20:21]
	v_mul_f32_e32 v38, v139, v15
	v_mul_f64 v[16:17], v[16:17], s[2:3]
	v_mul_f64 v[2:3], v[4:5], s[2:3]
	;; [unrolled: 1-line block ×4, first 2 shown]
	v_cvt_f64_f32_e32 v[24:25], v28
	v_cvt_f64_f32_e32 v[28:29], v29
	v_fmac_f32_e32 v34, v128, v12
	s_waitcnt lgkmcnt(0)
	v_mul_f32_e32 v32, v133, v9
	v_mul_f32_e32 v33, v133, v8
	;; [unrolled: 1-line block ×6, first 2 shown]
	v_fmac_f32_e32 v32, v132, v8
	v_fma_f32 v33, v132, v9, -v33
	v_cvt_f64_f32_e32 v[6:7], v30
	v_cvt_f64_f32_e32 v[8:9], v31
	v_fma_f32 v12, v128, v13, -v12
	v_fma_f32 v37, v136, v11, -v37
	v_fmac_f32_e32 v36, v136, v10
	v_fmac_f32_e32 v38, v138, v14
	v_fma_f32 v39, v138, v15, -v39
	v_cvt_f64_f32_e32 v[30:31], v32
	v_cvt_f64_f32_e32 v[32:33], v33
	;; [unrolled: 1-line block ×8, first 2 shown]
	v_add_co_u32 v20, s0, v26, s4
	v_add_co_ci_u32_e64 v21, s0, s5, v27, s0
	global_store_dwordx2 v[26:27], v[0:1], off
	global_store_dwordx2 v[20:21], v[18:19], off
	v_cvt_f32_f64_e32 v0, v[16:17]
	v_cvt_f32_f64_e32 v1, v[2:3]
	v_mul_f64 v[2:3], v[24:25], s[2:3]
	v_mul_f64 v[16:17], v[28:29], s[2:3]
	;; [unrolled: 1-line block ×4, first 2 shown]
	v_add_co_u32 v18, s0, v20, s12
	v_add_co_ci_u32_e64 v19, s0, s13, v21, s0
	v_cvt_f32_f64_e32 v4, v[4:5]
	v_cvt_f32_f64_e32 v5, v[22:23]
	v_mul_f64 v[20:21], v[30:31], s[2:3]
	v_mul_f64 v[22:23], v[32:33], s[2:3]
	;; [unrolled: 1-line block ×8, first 2 shown]
	v_add_co_u32 v30, s0, v18, s4
	v_add_co_ci_u32_e64 v31, s0, s5, v19, s0
	v_cvt_f32_f64_e32 v2, v[2:3]
	v_cvt_f32_f64_e32 v3, v[16:17]
	v_add_co_u32 v16, s0, v30, s12
	v_add_co_ci_u32_e64 v17, s0, s13, v31, s0
	v_cvt_f32_f64_e32 v6, v[6:7]
	v_cvt_f32_f64_e32 v7, v[8:9]
	v_add_co_u32 v8, s0, v16, s4
	v_add_co_ci_u32_e64 v9, s0, s5, v17, s0
	v_cvt_f32_f64_e32 v20, v[20:21]
	v_cvt_f32_f64_e32 v21, v[22:23]
	v_cvt_f32_f64_e32 v23, v[10:11]
	v_cvt_f32_f64_e32 v11, v[14:15]
	v_add_co_u32 v14, s0, v8, s12
	v_cvt_f32_f64_e32 v22, v[24:25]
	v_add_co_ci_u32_e64 v15, s0, s13, v9, s0
	v_cvt_f32_f64_e32 v10, v[12:13]
	v_cvt_f32_f64_e32 v12, v[26:27]
	;; [unrolled: 1-line block ×3, first 2 shown]
	global_store_dwordx2 v[18:19], v[0:1], off
	v_add_co_u32 v18, s0, v14, s4
	v_add_co_ci_u32_e64 v19, s0, s5, v15, s0
	global_store_dwordx2 v[30:31], v[4:5], off
	v_add_co_u32 v4, s0, v18, s12
	v_add_co_ci_u32_e64 v5, s0, s13, v19, s0
	;; [unrolled: 3-line block ×3, first 2 shown]
	global_store_dwordx2 v[8:9], v[6:7], off
	global_store_dwordx2 v[14:15], v[20:21], off
	;; [unrolled: 1-line block ×5, first 2 shown]
	s_and_b32 exec_lo, exec_lo, vcc_lo
	s_cbranch_execz .LBB0_31
; %bb.30:
	global_load_dwordx2 v[2:3], v[124:125], off offset:1472
	ds_read_b64 v[4:5], v175 offset:3520
	ds_read_b64 v[6:7], v175 offset:7216
	v_add_co_u32 v0, vcc_lo, v0, s12
	v_add_co_ci_u32_e32 v1, vcc_lo, s13, v1, vcc_lo
	s_waitcnt vmcnt(0) lgkmcnt(1)
	v_mul_f32_e32 v8, v5, v3
	v_mul_f32_e32 v3, v4, v3
	v_fmac_f32_e32 v8, v4, v2
	v_fma_f32 v4, v2, v5, -v3
	v_cvt_f64_f32_e32 v[2:3], v8
	v_cvt_f64_f32_e32 v[4:5], v4
	v_mul_f64 v[2:3], v[2:3], s[2:3]
	v_mul_f64 v[4:5], v[4:5], s[2:3]
	v_cvt_f32_f64_e32 v2, v[2:3]
	v_cvt_f32_f64_e32 v3, v[4:5]
	global_store_dwordx2 v[0:1], v[2:3], off
	global_load_dwordx2 v[2:3], v[126:127], off offset:1072
	v_add_co_u32 v0, vcc_lo, v0, s4
	v_add_co_ci_u32_e32 v1, vcc_lo, s5, v1, vcc_lo
	s_waitcnt vmcnt(0) lgkmcnt(0)
	v_mul_f32_e32 v4, v7, v3
	v_mul_f32_e32 v3, v6, v3
	v_fmac_f32_e32 v4, v6, v2
	v_fma_f32 v5, v2, v7, -v3
	v_cvt_f64_f32_e32 v[2:3], v4
	v_cvt_f64_f32_e32 v[4:5], v5
	v_mul_f64 v[2:3], v[2:3], s[2:3]
	v_mul_f64 v[4:5], v[4:5], s[2:3]
	v_cvt_f32_f64_e32 v2, v[2:3]
	v_cvt_f32_f64_e32 v3, v[4:5]
	global_store_dwordx2 v[0:1], v[2:3], off
.LBB0_31:
	s_endpgm
	.section	.rodata,"a",@progbits
	.p2align	6, 0x0
	.amdhsa_kernel bluestein_single_fwd_len924_dim1_sp_op_CI_CI
		.amdhsa_group_segment_fixed_size 7392
		.amdhsa_private_segment_fixed_size 0
		.amdhsa_kernarg_size 104
		.amdhsa_user_sgpr_count 6
		.amdhsa_user_sgpr_private_segment_buffer 1
		.amdhsa_user_sgpr_dispatch_ptr 0
		.amdhsa_user_sgpr_queue_ptr 0
		.amdhsa_user_sgpr_kernarg_segment_ptr 1
		.amdhsa_user_sgpr_dispatch_id 0
		.amdhsa_user_sgpr_flat_scratch_init 0
		.amdhsa_user_sgpr_private_segment_size 0
		.amdhsa_wavefront_size32 1
		.amdhsa_uses_dynamic_stack 0
		.amdhsa_system_sgpr_private_segment_wavefront_offset 0
		.amdhsa_system_sgpr_workgroup_id_x 1
		.amdhsa_system_sgpr_workgroup_id_y 0
		.amdhsa_system_sgpr_workgroup_id_z 0
		.amdhsa_system_sgpr_workgroup_info 0
		.amdhsa_system_vgpr_workitem_id 0
		.amdhsa_next_free_vgpr 255
		.amdhsa_next_free_sgpr 16
		.amdhsa_reserve_vcc 1
		.amdhsa_reserve_flat_scratch 0
		.amdhsa_float_round_mode_32 0
		.amdhsa_float_round_mode_16_64 0
		.amdhsa_float_denorm_mode_32 3
		.amdhsa_float_denorm_mode_16_64 3
		.amdhsa_dx10_clamp 1
		.amdhsa_ieee_mode 1
		.amdhsa_fp16_overflow 0
		.amdhsa_workgroup_processor_mode 1
		.amdhsa_memory_ordered 1
		.amdhsa_forward_progress 0
		.amdhsa_shared_vgpr_count 0
		.amdhsa_exception_fp_ieee_invalid_op 0
		.amdhsa_exception_fp_denorm_src 0
		.amdhsa_exception_fp_ieee_div_zero 0
		.amdhsa_exception_fp_ieee_overflow 0
		.amdhsa_exception_fp_ieee_underflow 0
		.amdhsa_exception_fp_ieee_inexact 0
		.amdhsa_exception_int_div_zero 0
	.end_amdhsa_kernel
	.text
.Lfunc_end0:
	.size	bluestein_single_fwd_len924_dim1_sp_op_CI_CI, .Lfunc_end0-bluestein_single_fwd_len924_dim1_sp_op_CI_CI
                                        ; -- End function
	.section	.AMDGPU.csdata,"",@progbits
; Kernel info:
; codeLenInByte = 23620
; NumSgprs: 18
; NumVgprs: 255
; ScratchSize: 0
; MemoryBound: 0
; FloatMode: 240
; IeeeMode: 1
; LDSByteSize: 7392 bytes/workgroup (compile time only)
; SGPRBlocks: 2
; VGPRBlocks: 31
; NumSGPRsForWavesPerEU: 18
; NumVGPRsForWavesPerEU: 255
; Occupancy: 4
; WaveLimiterHint : 1
; COMPUTE_PGM_RSRC2:SCRATCH_EN: 0
; COMPUTE_PGM_RSRC2:USER_SGPR: 6
; COMPUTE_PGM_RSRC2:TRAP_HANDLER: 0
; COMPUTE_PGM_RSRC2:TGID_X_EN: 1
; COMPUTE_PGM_RSRC2:TGID_Y_EN: 0
; COMPUTE_PGM_RSRC2:TGID_Z_EN: 0
; COMPUTE_PGM_RSRC2:TIDIG_COMP_CNT: 0
	.text
	.p2alignl 6, 3214868480
	.fill 48, 4, 3214868480
	.type	__hip_cuid_efca18db0abe09be,@object ; @__hip_cuid_efca18db0abe09be
	.section	.bss,"aw",@nobits
	.globl	__hip_cuid_efca18db0abe09be
__hip_cuid_efca18db0abe09be:
	.byte	0                               ; 0x0
	.size	__hip_cuid_efca18db0abe09be, 1

	.ident	"AMD clang version 19.0.0git (https://github.com/RadeonOpenCompute/llvm-project roc-6.4.0 25133 c7fe45cf4b819c5991fe208aaa96edf142730f1d)"
	.section	".note.GNU-stack","",@progbits
	.addrsig
	.addrsig_sym __hip_cuid_efca18db0abe09be
	.amdgpu_metadata
---
amdhsa.kernels:
  - .args:
      - .actual_access:  read_only
        .address_space:  global
        .offset:         0
        .size:           8
        .value_kind:     global_buffer
      - .actual_access:  read_only
        .address_space:  global
        .offset:         8
        .size:           8
        .value_kind:     global_buffer
      - .actual_access:  read_only
        .address_space:  global
        .offset:         16
        .size:           8
        .value_kind:     global_buffer
      - .actual_access:  read_only
        .address_space:  global
        .offset:         24
        .size:           8
        .value_kind:     global_buffer
      - .actual_access:  read_only
        .address_space:  global
        .offset:         32
        .size:           8
        .value_kind:     global_buffer
      - .offset:         40
        .size:           8
        .value_kind:     by_value
      - .address_space:  global
        .offset:         48
        .size:           8
        .value_kind:     global_buffer
      - .address_space:  global
        .offset:         56
        .size:           8
        .value_kind:     global_buffer
      - .address_space:  global
        .offset:         64
        .size:           8
        .value_kind:     global_buffer
      - .address_space:  global
        .offset:         72
        .size:           8
        .value_kind:     global_buffer
      - .offset:         80
        .size:           4
        .value_kind:     by_value
      - .address_space:  global
        .offset:         88
        .size:           8
        .value_kind:     global_buffer
      - .address_space:  global
        .offset:         96
        .size:           8
        .value_kind:     global_buffer
    .group_segment_fixed_size: 7392
    .kernarg_segment_align: 8
    .kernarg_segment_size: 104
    .language:       OpenCL C
    .language_version:
      - 2
      - 0
    .max_flat_workgroup_size: 44
    .name:           bluestein_single_fwd_len924_dim1_sp_op_CI_CI
    .private_segment_fixed_size: 0
    .sgpr_count:     18
    .sgpr_spill_count: 0
    .symbol:         bluestein_single_fwd_len924_dim1_sp_op_CI_CI.kd
    .uniform_work_group_size: 1
    .uses_dynamic_stack: false
    .vgpr_count:     255
    .vgpr_spill_count: 0
    .wavefront_size: 32
    .workgroup_processor_mode: 1
amdhsa.target:   amdgcn-amd-amdhsa--gfx1030
amdhsa.version:
  - 1
  - 2
...

	.end_amdgpu_metadata
